;; amdgpu-corpus repo=ROCm/rocFFT kind=compiled arch=gfx1201 opt=O3
	.text
	.amdgcn_target "amdgcn-amd-amdhsa--gfx1201"
	.amdhsa_code_object_version 6
	.protected	fft_rtc_back_len1989_factors_17_13_9_wgs_153_tpt_153_halfLds_sp_op_CI_CI_unitstride_sbrr_dirReg ; -- Begin function fft_rtc_back_len1989_factors_17_13_9_wgs_153_tpt_153_halfLds_sp_op_CI_CI_unitstride_sbrr_dirReg
	.globl	fft_rtc_back_len1989_factors_17_13_9_wgs_153_tpt_153_halfLds_sp_op_CI_CI_unitstride_sbrr_dirReg
	.p2align	8
	.type	fft_rtc_back_len1989_factors_17_13_9_wgs_153_tpt_153_halfLds_sp_op_CI_CI_unitstride_sbrr_dirReg,@function
fft_rtc_back_len1989_factors_17_13_9_wgs_153_tpt_153_halfLds_sp_op_CI_CI_unitstride_sbrr_dirReg: ; @fft_rtc_back_len1989_factors_17_13_9_wgs_153_tpt_153_halfLds_sp_op_CI_CI_unitstride_sbrr_dirReg
; %bb.0:
	s_clause 0x2
	s_load_b128 s[4:7], s[0:1], 0x0
	s_load_b128 s[8:11], s[0:1], 0x58
	;; [unrolled: 1-line block ×3, first 2 shown]
	v_mul_u32_u24_e32 v1, 0x1ad, v0
	v_mov_b32_e32 v3, 0
	v_mov_b32_e32 v7, 0
	;; [unrolled: 1-line block ×3, first 2 shown]
	s_delay_alu instid0(VALU_DEP_4) | instskip(NEXT) | instid1(VALU_DEP_1)
	v_lshrrev_b32_e32 v1, 16, v1
	v_dual_mov_b32 v10, v3 :: v_dual_add_nc_u32 v9, ttmp9, v1
	s_wait_kmcnt 0x0
	v_cmp_lt_u64_e64 s2, s[6:7], 2
	s_delay_alu instid0(VALU_DEP_1)
	s_and_b32 vcc_lo, exec_lo, s2
	s_cbranch_vccnz .LBB0_8
; %bb.1:
	s_load_b64 s[2:3], s[0:1], 0x10
	v_mov_b32_e32 v7, 0
	v_mov_b32_e32 v8, 0
	s_delay_alu instid0(VALU_DEP_2)
	v_mov_b32_e32 v1, v7
	s_add_nc_u64 s[16:17], s[14:15], 8
	s_add_nc_u64 s[18:19], s[12:13], 8
	s_mov_b64 s[20:21], 1
	v_mov_b32_e32 v2, v8
	s_wait_kmcnt 0x0
	s_add_nc_u64 s[22:23], s[2:3], 8
	s_mov_b32 s3, 0
.LBB0_2:                                ; =>This Inner Loop Header: Depth=1
	s_load_b64 s[24:25], s[22:23], 0x0
                                        ; implicit-def: $vgpr5_vgpr6
	s_mov_b32 s2, exec_lo
	s_wait_kmcnt 0x0
	v_or_b32_e32 v4, s25, v10
	s_delay_alu instid0(VALU_DEP_1)
	v_cmpx_ne_u64_e32 0, v[3:4]
	s_wait_alu 0xfffe
	s_xor_b32 s26, exec_lo, s2
	s_cbranch_execz .LBB0_4
; %bb.3:                                ;   in Loop: Header=BB0_2 Depth=1
	s_cvt_f32_u32 s2, s24
	s_cvt_f32_u32 s27, s25
	s_sub_nc_u64 s[30:31], 0, s[24:25]
	s_wait_alu 0xfffe
	s_delay_alu instid0(SALU_CYCLE_1) | instskip(SKIP_1) | instid1(SALU_CYCLE_2)
	s_fmamk_f32 s2, s27, 0x4f800000, s2
	s_wait_alu 0xfffe
	v_s_rcp_f32 s2, s2
	s_delay_alu instid0(TRANS32_DEP_1) | instskip(SKIP_1) | instid1(SALU_CYCLE_2)
	s_mul_f32 s2, s2, 0x5f7ffffc
	s_wait_alu 0xfffe
	s_mul_f32 s27, s2, 0x2f800000
	s_wait_alu 0xfffe
	s_delay_alu instid0(SALU_CYCLE_2) | instskip(SKIP_1) | instid1(SALU_CYCLE_2)
	s_trunc_f32 s27, s27
	s_wait_alu 0xfffe
	s_fmamk_f32 s2, s27, 0xcf800000, s2
	s_cvt_u32_f32 s29, s27
	s_wait_alu 0xfffe
	s_delay_alu instid0(SALU_CYCLE_1) | instskip(SKIP_1) | instid1(SALU_CYCLE_2)
	s_cvt_u32_f32 s28, s2
	s_wait_alu 0xfffe
	s_mul_u64 s[34:35], s[30:31], s[28:29]
	s_wait_alu 0xfffe
	s_mul_hi_u32 s37, s28, s35
	s_mul_i32 s36, s28, s35
	s_mul_hi_u32 s2, s28, s34
	s_mul_i32 s33, s29, s34
	s_wait_alu 0xfffe
	s_add_nc_u64 s[36:37], s[2:3], s[36:37]
	s_mul_hi_u32 s27, s29, s34
	s_mul_hi_u32 s38, s29, s35
	s_add_co_u32 s2, s36, s33
	s_wait_alu 0xfffe
	s_add_co_ci_u32 s2, s37, s27
	s_mul_i32 s34, s29, s35
	s_add_co_ci_u32 s35, s38, 0
	s_wait_alu 0xfffe
	s_add_nc_u64 s[34:35], s[2:3], s[34:35]
	s_wait_alu 0xfffe
	v_add_co_u32 v4, s2, s28, s34
	s_delay_alu instid0(VALU_DEP_1) | instskip(SKIP_1) | instid1(VALU_DEP_1)
	s_cmp_lg_u32 s2, 0
	s_add_co_ci_u32 s29, s29, s35
	v_readfirstlane_b32 s28, v4
	s_wait_alu 0xfffe
	s_delay_alu instid0(VALU_DEP_1)
	s_mul_u64 s[30:31], s[30:31], s[28:29]
	s_wait_alu 0xfffe
	s_mul_hi_u32 s35, s28, s31
	s_mul_i32 s34, s28, s31
	s_mul_hi_u32 s2, s28, s30
	s_mul_i32 s33, s29, s30
	s_wait_alu 0xfffe
	s_add_nc_u64 s[34:35], s[2:3], s[34:35]
	s_mul_hi_u32 s27, s29, s30
	s_mul_hi_u32 s28, s29, s31
	s_wait_alu 0xfffe
	s_add_co_u32 s2, s34, s33
	s_add_co_ci_u32 s2, s35, s27
	s_mul_i32 s30, s29, s31
	s_add_co_ci_u32 s31, s28, 0
	s_wait_alu 0xfffe
	s_add_nc_u64 s[30:31], s[2:3], s[30:31]
	s_wait_alu 0xfffe
	v_add_co_u32 v6, s2, v4, s30
	s_delay_alu instid0(VALU_DEP_1) | instskip(SKIP_1) | instid1(VALU_DEP_1)
	s_cmp_lg_u32 s2, 0
	s_add_co_ci_u32 s2, s29, s31
	v_mul_hi_u32 v15, v9, v6
	s_wait_alu 0xfffe
	v_mad_co_u64_u32 v[4:5], null, v9, s2, 0
	v_mad_co_u64_u32 v[11:12], null, v10, v6, 0
	;; [unrolled: 1-line block ×3, first 2 shown]
	s_delay_alu instid0(VALU_DEP_3) | instskip(SKIP_1) | instid1(VALU_DEP_4)
	v_add_co_u32 v4, vcc_lo, v15, v4
	s_wait_alu 0xfffd
	v_add_co_ci_u32_e32 v5, vcc_lo, 0, v5, vcc_lo
	s_delay_alu instid0(VALU_DEP_2) | instskip(SKIP_1) | instid1(VALU_DEP_2)
	v_add_co_u32 v4, vcc_lo, v4, v11
	s_wait_alu 0xfffd
	v_add_co_ci_u32_e32 v4, vcc_lo, v5, v12, vcc_lo
	s_wait_alu 0xfffd
	v_add_co_ci_u32_e32 v5, vcc_lo, 0, v14, vcc_lo
	s_delay_alu instid0(VALU_DEP_2) | instskip(SKIP_1) | instid1(VALU_DEP_2)
	v_add_co_u32 v11, vcc_lo, v4, v13
	s_wait_alu 0xfffd
	v_add_co_ci_u32_e32 v6, vcc_lo, 0, v5, vcc_lo
	s_delay_alu instid0(VALU_DEP_2) | instskip(SKIP_1) | instid1(VALU_DEP_3)
	v_mul_lo_u32 v12, s25, v11
	v_mad_co_u64_u32 v[4:5], null, s24, v11, 0
	v_mul_lo_u32 v13, s24, v6
	s_delay_alu instid0(VALU_DEP_2) | instskip(NEXT) | instid1(VALU_DEP_2)
	v_sub_co_u32 v4, vcc_lo, v9, v4
	v_add3_u32 v5, v5, v13, v12
	s_delay_alu instid0(VALU_DEP_1) | instskip(SKIP_1) | instid1(VALU_DEP_1)
	v_sub_nc_u32_e32 v12, v10, v5
	s_wait_alu 0xfffd
	v_subrev_co_ci_u32_e64 v12, s2, s25, v12, vcc_lo
	v_add_co_u32 v13, s2, v11, 2
	s_wait_alu 0xf1ff
	v_add_co_ci_u32_e64 v14, s2, 0, v6, s2
	v_sub_co_u32 v15, s2, v4, s24
	v_sub_co_ci_u32_e32 v5, vcc_lo, v10, v5, vcc_lo
	s_wait_alu 0xf1ff
	v_subrev_co_ci_u32_e64 v12, s2, 0, v12, s2
	s_delay_alu instid0(VALU_DEP_3) | instskip(NEXT) | instid1(VALU_DEP_3)
	v_cmp_le_u32_e32 vcc_lo, s24, v15
	v_cmp_eq_u32_e64 s2, s25, v5
	s_wait_alu 0xfffd
	v_cndmask_b32_e64 v15, 0, -1, vcc_lo
	v_cmp_le_u32_e32 vcc_lo, s25, v12
	s_wait_alu 0xfffd
	v_cndmask_b32_e64 v16, 0, -1, vcc_lo
	v_cmp_le_u32_e32 vcc_lo, s24, v4
	;; [unrolled: 3-line block ×3, first 2 shown]
	s_wait_alu 0xfffd
	v_cndmask_b32_e64 v17, 0, -1, vcc_lo
	v_cmp_eq_u32_e32 vcc_lo, s25, v12
	s_wait_alu 0xf1ff
	s_delay_alu instid0(VALU_DEP_2)
	v_cndmask_b32_e64 v4, v17, v4, s2
	s_wait_alu 0xfffd
	v_cndmask_b32_e32 v12, v16, v15, vcc_lo
	v_add_co_u32 v15, vcc_lo, v11, 1
	s_wait_alu 0xfffd
	v_add_co_ci_u32_e32 v16, vcc_lo, 0, v6, vcc_lo
	s_delay_alu instid0(VALU_DEP_3) | instskip(SKIP_1) | instid1(VALU_DEP_2)
	v_cmp_ne_u32_e32 vcc_lo, 0, v12
	s_wait_alu 0xfffd
	v_dual_cndmask_b32 v5, v16, v14 :: v_dual_cndmask_b32 v12, v15, v13
	v_cmp_ne_u32_e32 vcc_lo, 0, v4
	s_wait_alu 0xfffd
	s_delay_alu instid0(VALU_DEP_2)
	v_dual_cndmask_b32 v6, v6, v5 :: v_dual_cndmask_b32 v5, v11, v12
.LBB0_4:                                ;   in Loop: Header=BB0_2 Depth=1
	s_wait_alu 0xfffe
	s_and_not1_saveexec_b32 s2, s26
	s_cbranch_execz .LBB0_6
; %bb.5:                                ;   in Loop: Header=BB0_2 Depth=1
	v_cvt_f32_u32_e32 v4, s24
	s_sub_co_i32 s26, 0, s24
	s_delay_alu instid0(VALU_DEP_1) | instskip(NEXT) | instid1(TRANS32_DEP_1)
	v_rcp_iflag_f32_e32 v4, v4
	v_mul_f32_e32 v4, 0x4f7ffffe, v4
	s_delay_alu instid0(VALU_DEP_1) | instskip(SKIP_1) | instid1(VALU_DEP_1)
	v_cvt_u32_f32_e32 v4, v4
	s_wait_alu 0xfffe
	v_mul_lo_u32 v5, s26, v4
	s_delay_alu instid0(VALU_DEP_1) | instskip(NEXT) | instid1(VALU_DEP_1)
	v_mul_hi_u32 v5, v4, v5
	v_add_nc_u32_e32 v4, v4, v5
	s_delay_alu instid0(VALU_DEP_1) | instskip(NEXT) | instid1(VALU_DEP_1)
	v_mul_hi_u32 v4, v9, v4
	v_mul_lo_u32 v5, v4, s24
	v_add_nc_u32_e32 v6, 1, v4
	s_delay_alu instid0(VALU_DEP_2) | instskip(NEXT) | instid1(VALU_DEP_1)
	v_sub_nc_u32_e32 v5, v9, v5
	v_subrev_nc_u32_e32 v11, s24, v5
	v_cmp_le_u32_e32 vcc_lo, s24, v5
	s_wait_alu 0xfffd
	s_delay_alu instid0(VALU_DEP_2) | instskip(NEXT) | instid1(VALU_DEP_1)
	v_dual_cndmask_b32 v5, v5, v11 :: v_dual_cndmask_b32 v4, v4, v6
	v_cmp_le_u32_e32 vcc_lo, s24, v5
	s_delay_alu instid0(VALU_DEP_2) | instskip(SKIP_1) | instid1(VALU_DEP_1)
	v_add_nc_u32_e32 v6, 1, v4
	s_wait_alu 0xfffd
	v_dual_cndmask_b32 v5, v4, v6 :: v_dual_mov_b32 v6, v3
.LBB0_6:                                ;   in Loop: Header=BB0_2 Depth=1
	s_wait_alu 0xfffe
	s_or_b32 exec_lo, exec_lo, s2
	s_delay_alu instid0(VALU_DEP_1) | instskip(NEXT) | instid1(VALU_DEP_2)
	v_mul_lo_u32 v4, v6, s24
	v_mul_lo_u32 v13, v5, s25
	s_load_b64 s[26:27], s[18:19], 0x0
	v_mad_co_u64_u32 v[11:12], null, v5, s24, 0
	s_load_b64 s[24:25], s[16:17], 0x0
	s_add_nc_u64 s[20:21], s[20:21], 1
	s_add_nc_u64 s[16:17], s[16:17], 8
	s_wait_alu 0xfffe
	v_cmp_ge_u64_e64 s2, s[20:21], s[6:7]
	s_add_nc_u64 s[18:19], s[18:19], 8
	s_add_nc_u64 s[22:23], s[22:23], 8
	v_add3_u32 v4, v12, v13, v4
	v_sub_co_u32 v9, vcc_lo, v9, v11
	s_wait_alu 0xfffd
	s_delay_alu instid0(VALU_DEP_2) | instskip(SKIP_2) | instid1(VALU_DEP_1)
	v_sub_co_ci_u32_e32 v4, vcc_lo, v10, v4, vcc_lo
	s_and_b32 vcc_lo, exec_lo, s2
	s_wait_kmcnt 0x0
	v_mul_lo_u32 v10, s26, v4
	v_mul_lo_u32 v11, s27, v9
	v_mad_co_u64_u32 v[7:8], null, s26, v9, v[7:8]
	v_mul_lo_u32 v4, s24, v4
	v_mul_lo_u32 v12, s25, v9
	v_mad_co_u64_u32 v[1:2], null, s24, v9, v[1:2]
	s_delay_alu instid0(VALU_DEP_4) | instskip(NEXT) | instid1(VALU_DEP_2)
	v_add3_u32 v8, v11, v8, v10
	v_add3_u32 v2, v12, v2, v4
	s_wait_alu 0xfffe
	s_cbranch_vccnz .LBB0_9
; %bb.7:                                ;   in Loop: Header=BB0_2 Depth=1
	v_dual_mov_b32 v10, v6 :: v_dual_mov_b32 v9, v5
	s_branch .LBB0_2
.LBB0_8:
	v_dual_mov_b32 v1, v7 :: v_dual_mov_b32 v2, v8
	v_dual_mov_b32 v5, v9 :: v_dual_mov_b32 v6, v10
.LBB0_9:
	s_load_b64 s[0:1], s[0:1], 0x28
	v_mul_hi_u32 v3, 0x1ac5702, v0
	v_dual_mov_b32 v15, 0 :: v_dual_mov_b32 v14, 0
	s_lshl_b64 s[2:3], s[6:7], 3
                                        ; implicit-def: $vgpr31
                                        ; implicit-def: $vgpr33
                                        ; implicit-def: $vgpr35
                                        ; implicit-def: $vgpr37
                                        ; implicit-def: $vgpr39
                                        ; implicit-def: $vgpr41
                                        ; implicit-def: $vgpr43
                                        ; implicit-def: $vgpr45
                                        ; implicit-def: $vgpr47
                                        ; implicit-def: $vgpr23
                                        ; implicit-def: $vgpr25
                                        ; implicit-def: $vgpr27
                                        ; implicit-def: $vgpr21
                                        ; implicit-def: $vgpr17
                                        ; implicit-def: $vgpr19
                                        ; implicit-def: $vgpr29
	s_delay_alu instid0(VALU_DEP_2) | instskip(NEXT) | instid1(VALU_DEP_1)
	v_mul_u32_u24_e32 v3, 0x99, v3
	v_sub_nc_u32_e32 v3, v0, v3
	s_wait_kmcnt 0x0
	v_cmp_gt_u64_e32 vcc_lo, s[0:1], v[5:6]
	s_delay_alu instid0(VALU_DEP_2) | instskip(NEXT) | instid1(VALU_DEP_1)
	v_cmp_gt_u32_e64 s0, 0x75, v3
	s_and_b32 s1, vcc_lo, s0
	s_wait_alu 0xfffe
	s_and_saveexec_b32 s6, s1
	s_cbranch_execz .LBB0_11
; %bb.10:
	s_add_nc_u64 s[12:13], s[12:13], s[2:3]
	v_lshlrev_b64_e32 v[7:8], 3, v[7:8]
	s_load_b64 s[12:13], s[12:13], 0x0
	s_wait_kmcnt 0x0
	v_mul_lo_u32 v0, s13, v5
	v_mul_lo_u32 v4, s12, v6
	v_mad_co_u64_u32 v[9:10], null, s12, v5, 0
	s_delay_alu instid0(VALU_DEP_1) | instskip(SKIP_1) | instid1(VALU_DEP_2)
	v_add3_u32 v10, v10, v4, v0
	v_mov_b32_e32 v4, 0
	v_lshlrev_b64_e32 v[9:10], 3, v[9:10]
	s_delay_alu instid0(VALU_DEP_1) | instskip(SKIP_1) | instid1(VALU_DEP_2)
	v_add_co_u32 v0, s1, s8, v9
	s_wait_alu 0xf1ff
	v_add_co_ci_u32_e64 v11, s1, s9, v10, s1
	v_lshlrev_b64_e32 v[9:10], 3, v[3:4]
	s_delay_alu instid0(VALU_DEP_3) | instskip(SKIP_1) | instid1(VALU_DEP_3)
	v_add_co_u32 v0, s1, v0, v7
	s_wait_alu 0xf1ff
	v_add_co_ci_u32_e64 v4, s1, v11, v8, s1
	s_delay_alu instid0(VALU_DEP_2) | instskip(SKIP_1) | instid1(VALU_DEP_2)
	v_add_co_u32 v7, s1, v0, v9
	s_wait_alu 0xf1ff
	v_add_co_ci_u32_e64 v8, s1, v4, v10, s1
	s_clause 0x10
	global_load_b64 v[14:15], v[7:8], off
	global_load_b64 v[30:31], v[7:8], off offset:936
	global_load_b64 v[32:33], v[7:8], off offset:1872
	;; [unrolled: 1-line block ×16, first 2 shown]
.LBB0_11:
	s_wait_alu 0xfffe
	s_or_b32 exec_lo, exec_lo, s6
	s_wait_loadcnt 0x0
	v_dual_sub_f32 v78, v31, v17 :: v_dual_add_f32 v59, v30, v16
	v_dual_sub_f32 v82, v35, v29 :: v_dual_add_f32 v71, v34, v28
	v_dual_sub_f32 v84, v39, v27 :: v_dual_sub_f32 v87, v41, v25
	s_delay_alu instid0(VALU_DEP_3) | instskip(SKIP_1) | instid1(VALU_DEP_4)
	v_dual_mul_f32 v11, 0xbf2c7751, v78 :: v_dual_sub_f32 v80, v33, v19
	v_mul_f32_e32 v73, 0xbf7ee86f, v78
	v_dual_mul_f32 v53, 0x3e3c28d5, v82 :: v_dual_add_f32 v56, v36, v20
	s_delay_alu instid0(VALU_DEP_3)
	v_fma_f32 v8, 0x3f3d2fb0, v59, -v11
	v_mul_f32_e32 v57, 0xbf65296c, v78
	v_mul_f32_e32 v12, 0xbf7ee86f, v80
	v_fma_f32 v10, 0x3dbcf732, v59, -v73
	v_mul_f32_e32 v75, 0xbe3c28d5, v80
	v_add_f32_e32 v8, v14, v8
	v_fma_f32 v9, 0x3ee437d1, v59, -v57
	v_mul_f32_e32 v0, 0xbeb8f4ab, v78
	v_add_f32_e32 v10, v14, v10
	v_fma_f32 v52, 0xbf7ba420, v71, -v53
	v_dual_mul_f32 v85, 0xbf65296c, v84 :: v_dual_add_f32 v74, v42, v22
	v_add_f32_e32 v9, v14, v9
	v_fma_f32 v7, 0x3f6eb680, v59, -v0
	v_add_f32_e32 v60, v32, v18
	v_mul_f32_e32 v62, 0xbf4c4adb, v80
	v_dual_add_f32 v70, v40, v24 :: v_dual_sub_f32 v83, v37, v21
	s_delay_alu instid0(VALU_DEP_4) | instskip(NEXT) | instid1(VALU_DEP_4)
	v_dual_add_f32 v7, v14, v7 :: v_dual_mul_f32 v4, 0xbf2c7751, v80
	v_fma_f32 v48, 0x3dbcf732, v60, -v12
	s_delay_alu instid0(VALU_DEP_4) | instskip(SKIP_3) | instid1(VALU_DEP_4)
	v_fma_f32 v49, 0xbf1a4643, v60, -v62
	v_fma_f32 v50, 0xbf7ba420, v60, -v75
	v_dual_mul_f32 v81, 0x3eb8f4ab, v83 :: v_dual_add_f32 v64, v38, v26
	v_fma_f32 v13, 0x3f3d2fb0, v60, -v4
	v_dual_add_f32 v8, v8, v48 :: v_dual_add_f32 v9, v9, v49
	v_mul_f32_e32 v48, 0xbf4c4adb, v82
	s_delay_alu instid0(VALU_DEP_3) | instskip(SKIP_1) | instid1(VALU_DEP_4)
	v_dual_add_f32 v10, v10, v50 :: v_dual_add_f32 v7, v7, v13
	v_mul_f32_e32 v13, 0xbf65296c, v82
	v_add_f32_e32 v9, v9, v52
	s_delay_alu instid0(VALU_DEP_4) | instskip(SKIP_1) | instid1(VALU_DEP_4)
	v_fma_f32 v51, 0xbf1a4643, v71, -v48
	v_dual_mul_f32 v77, 0x3f763a35, v82 :: v_dual_mul_f32 v58, 0x3f763a35, v83
	v_fma_f32 v50, 0x3ee437d1, v71, -v13
	v_fma_f32 v61, 0x3f6eb680, v56, -v81
	s_delay_alu instid0(VALU_DEP_4) | instskip(NEXT) | instid1(VALU_DEP_4)
	v_add_f32_e32 v8, v8, v51
	v_fma_f32 v54, 0xbe8c1d8e, v71, -v77
	v_mul_f32_e32 v49, 0xbf7ee86f, v83
	v_dual_add_f32 v7, v7, v50 :: v_dual_mul_f32 v50, 0xbe3c28d5, v83
	v_fma_f32 v55, 0xbe8c1d8e, v56, -v58
	s_delay_alu instid0(VALU_DEP_4) | instskip(NEXT) | instid1(VALU_DEP_4)
	v_add_f32_e32 v10, v10, v54
	v_fma_f32 v52, 0x3dbcf732, v56, -v49
	v_mul_f32_e32 v51, 0xbf763a35, v84
	v_fma_f32 v54, 0xbf7ba420, v56, -v50
	v_fma_f32 v66, 0x3ee437d1, v64, -v85
	s_delay_alu instid0(VALU_DEP_4) | instskip(NEXT) | instid1(VALU_DEP_4)
	v_dual_add_f32 v10, v61, v10 :: v_dual_add_f32 v7, v52, v7
	v_fma_f32 v63, 0xbe8c1d8e, v64, -v51
	s_delay_alu instid0(VALU_DEP_4) | instskip(SKIP_1) | instid1(VALU_DEP_4)
	v_add_f32_e32 v8, v54, v8
	v_mul_f32_e32 v52, 0x3f06c442, v84
	v_dual_mul_f32 v65, 0x3f2c7751, v84 :: v_dual_add_f32 v10, v66, v10
	v_add_f32_e32 v9, v55, v9
	v_add_f32_e32 v7, v63, v7
	s_delay_alu instid0(VALU_DEP_4) | instskip(NEXT) | instid1(VALU_DEP_4)
	v_fma_f32 v61, 0xbf59a7d5, v64, -v52
	v_fma_f32 v63, 0x3f3d2fb0, v64, -v65
	v_mul_f32_e32 v54, 0xbf4c4adb, v87
	v_mul_f32_e32 v55, 0x3f763a35, v87
	s_delay_alu instid0(VALU_DEP_4) | instskip(NEXT) | instid1(VALU_DEP_4)
	v_dual_sub_f32 v89, v43, v23 :: v_dual_add_f32 v8, v61, v8
	v_add_f32_e32 v9, v63, v9
	s_delay_alu instid0(VALU_DEP_4) | instskip(NEXT) | instid1(VALU_DEP_4)
	v_fma_f32 v61, 0xbf1a4643, v70, -v54
	v_fma_f32 v63, 0xbe8c1d8e, v70, -v55
	v_mul_f32_e32 v66, 0xbeb8f4ab, v87
	v_mul_f32_e32 v86, 0xbf06c442, v87
	v_dual_mul_f32 v67, 0xbf7ee86f, v89 :: v_dual_sub_f32 v90, v45, v47
	s_delay_alu instid0(VALU_DEP_4) | instskip(NEXT) | instid1(VALU_DEP_4)
	v_dual_add_f32 v7, v61, v7 :: v_dual_add_f32 v8, v63, v8
	v_fma_f32 v68, 0x3f6eb680, v70, -v66
	v_mul_f32_e32 v61, 0xbf06c442, v89
	v_fma_f32 v69, 0xbf59a7d5, v70, -v86
	v_mul_f32_e32 v63, 0x3f65296c, v89
	v_fma_f32 v72, 0x3dbcf732, v74, -v67
	v_add_f32_e32 v9, v68, v9
	v_fma_f32 v68, 0xbf59a7d5, v74, -v61
	v_add_f32_e32 v10, v69, v10
	v_fma_f32 v69, 0x3ee437d1, v74, -v63
	v_mul_f32_e32 v88, 0x3f4c4adb, v89
	v_add_f32_e32 v9, v72, v9
	v_dual_add_f32 v7, v68, v7 :: v_dual_mul_f32 v68, 0xbe3c28d5, v90
	s_delay_alu instid0(VALU_DEP_4) | instskip(NEXT) | instid1(VALU_DEP_4)
	v_dual_add_f32 v91, v69, v8 :: v_dual_add_f32 v76, v44, v46
	v_fma_f32 v8, 0xbf1a4643, v74, -v88
	s_delay_alu instid0(VALU_DEP_1) | instskip(NEXT) | instid1(VALU_DEP_3)
	v_add_f32_e32 v92, v8, v10
	v_fma_f32 v8, 0xbf7ba420, v76, -v68
	s_delay_alu instid0(VALU_DEP_1) | instskip(NEXT) | instid1(VALU_DEP_1)
	v_dual_mul_f32 v69, 0x3eb8f4ab, v90 :: v_dual_add_f32 v8, v8, v7
	v_fma_f32 v10, 0x3f6eb680, v76, -v69
	s_delay_alu instid0(VALU_DEP_1) | instskip(NEXT) | instid1(VALU_DEP_1)
	v_dual_mul_f32 v72, 0xbf06c442, v90 :: v_dual_add_f32 v7, v10, v91
	;; [unrolled: 3-line block ×3, first 2 shown]
	v_fma_f32 v94, 0x3f3d2fb0, v76, -v79
	s_delay_alu instid0(VALU_DEP_1)
	v_add_f32_e32 v9, v94, v92
	s_and_saveexec_b32 s1, s0
	s_cbranch_execz .LBB0_13
; %bb.12:
	v_mul_f32_e32 v91, 0xbf7ba420, v59
	v_mul_f32_e32 v103, 0xbe8c1d8e, v60
	;; [unrolled: 1-line block ×5, first 2 shown]
	v_fmamk_f32 v95, v78, 0x3e3c28d5, v91
	v_mul_f32_e32 v92, 0x3f6eb680, v60
	v_fmac_f32_e32 v91, 0xbe3c28d5, v78
	v_mul_f32_e32 v94, 0x3ee437d1, v60
	s_delay_alu instid0(VALU_DEP_4) | instskip(NEXT) | instid1(VALU_DEP_4)
	v_dual_fmamk_f32 v104, v80, 0xbf763a35, v103 :: v_dual_add_f32 v95, v14, v95
	v_fmamk_f32 v97, v80, 0xbeb8f4ab, v92
	v_mul_f32_e32 v96, 0xbf59a7d5, v71
	v_add_f32_e32 v91, v14, v91
	v_fmac_f32_e32 v103, 0x3f763a35, v80
	s_delay_alu instid0(VALU_DEP_4) | instskip(NEXT) | instid1(VALU_DEP_4)
	v_dual_mul_f32 v108, 0x3ee437d1, v56 :: v_dual_add_f32 v95, v95, v97
	v_fmamk_f32 v99, v82, 0x3f06c442, v96
	s_delay_alu instid0(VALU_DEP_1) | instskip(SKIP_1) | instid1(VALU_DEP_2)
	v_dual_fmac_f32 v92, 0x3eb8f4ab, v80 :: v_dual_add_f32 v95, v95, v99
	v_mul_f32_e32 v98, 0x3f3d2fb0, v56
	v_dual_fmac_f32 v96, 0xbf06c442, v82 :: v_dual_add_f32 v91, v91, v92
	s_delay_alu instid0(VALU_DEP_2) | instskip(NEXT) | instid1(VALU_DEP_2)
	v_fmamk_f32 v97, v83, 0xbf2c7751, v98
	v_add_f32_e32 v91, v91, v96
	s_delay_alu instid0(VALU_DEP_2) | instskip(SKIP_3) | instid1(VALU_DEP_3)
	v_add_f32_e32 v95, v97, v95
	v_fmac_f32_e32 v98, 0x3f2c7751, v83
	v_mul_f32_e32 v92, 0xbf1a4643, v64
	v_mul_f32_e32 v97, 0x3ee437d1, v70
	v_dual_add_f32 v91, v98, v91 :: v_dual_fmamk_f32 v98, v80, 0xbf65296c, v94
	v_mul_f32_e32 v93, 0xbf59a7d5, v59
	s_delay_alu instid0(VALU_DEP_4) | instskip(SKIP_2) | instid1(VALU_DEP_3)
	v_fmamk_f32 v99, v84, 0x3f4c4adb, v92
	v_fmac_f32_e32 v92, 0xbf4c4adb, v84
	v_fmac_f32_e32 v94, 0x3f65296c, v80
	v_dual_fmamk_f32 v96, v78, 0x3f06c442, v93 :: v_dual_add_f32 v95, v99, v95
	s_delay_alu instid0(VALU_DEP_3) | instskip(NEXT) | instid1(VALU_DEP_2)
	v_dual_add_f32 v91, v92, v91 :: v_dual_fmamk_f32 v92, v87, 0xbf65296c, v97
	v_dual_mul_f32 v99, 0x3dbcf732, v71 :: v_dual_add_f32 v96, v14, v96
	v_fmac_f32_e32 v97, 0x3f65296c, v87
	s_delay_alu instid0(VALU_DEP_2) | instskip(NEXT) | instid1(VALU_DEP_3)
	v_dual_add_f32 v92, v92, v95 :: v_dual_fmamk_f32 v95, v82, 0x3f7ee86f, v99
	v_add_f32_e32 v96, v96, v98
	s_delay_alu instid0(VALU_DEP_3) | instskip(SKIP_1) | instid1(VALU_DEP_2)
	v_dual_mul_f32 v98, 0xbe8c1d8e, v74 :: v_dual_add_f32 v91, v97, v91
	v_mul_f32_e32 v97, 0xbf1a4643, v56
	v_dual_add_f32 v95, v96, v95 :: v_dual_fmamk_f32 v100, v89, 0x3f763a35, v98
	v_fmac_f32_e32 v98, 0xbf763a35, v89
	s_delay_alu instid0(VALU_DEP_1) | instskip(SKIP_1) | instid1(VALU_DEP_1)
	v_dual_add_f32 v91, v98, v91 :: v_dual_add_f32 v92, v100, v92
	v_fmamk_f32 v98, v90, 0xbf7ee86f, v101
	v_dual_fmac_f32 v101, 0x3f7ee86f, v90 :: v_dual_add_f32 v92, v98, v92
	v_mul_f32_e32 v98, 0xbf1a4643, v59
	s_delay_alu instid0(VALU_DEP_2) | instskip(NEXT) | instid1(VALU_DEP_2)
	v_add_f32_e32 v91, v101, v91
	v_fmamk_f32 v101, v78, 0x3f4c4adb, v98
	v_fmac_f32_e32 v98, 0xbf4c4adb, v78
	s_delay_alu instid0(VALU_DEP_2) | instskip(NEXT) | instid1(VALU_DEP_2)
	v_dual_mul_f32 v100, 0xbf7ba420, v70 :: v_dual_add_f32 v101, v14, v101
	v_add_f32_e32 v98, v14, v98
	s_delay_alu instid0(VALU_DEP_1) | instskip(SKIP_2) | instid1(VALU_DEP_3)
	v_dual_add_f32 v98, v98, v103 :: v_dual_fmac_f32 v93, 0xbf06c442, v78
	v_fmamk_f32 v96, v83, 0xbf4c4adb, v97
	v_fmac_f32_e32 v97, 0x3f4c4adb, v83
	v_add_f32_e32 v93, v14, v93
	s_delay_alu instid0(VALU_DEP_3) | instskip(NEXT) | instid1(VALU_DEP_1)
	v_dual_add_f32 v95, v96, v95 :: v_dual_mul_f32 v102, 0x3f6eb680, v64
	v_dual_add_f32 v93, v93, v94 :: v_dual_fmamk_f32 v96, v84, 0x3eb8f4ab, v102
	s_delay_alu instid0(VALU_DEP_1) | instskip(SKIP_1) | instid1(VALU_DEP_2)
	v_dual_add_f32 v95, v96, v95 :: v_dual_fmamk_f32 v96, v87, 0x3e3c28d5, v100
	v_fmac_f32_e32 v100, 0xbe3c28d5, v87
	v_dual_add_f32 v95, v96, v95 :: v_dual_mul_f32 v96, 0x3f3d2fb0, v74
	s_delay_alu instid0(VALU_DEP_1) | instskip(NEXT) | instid1(VALU_DEP_1)
	v_fmamk_f32 v94, v89, 0xbf2c7751, v96
	v_dual_add_f32 v94, v94, v95 :: v_dual_add_f32 v95, v101, v104
	v_mul_f32_e32 v104, 0x3dbcf732, v64
	v_fmac_f32_e32 v99, 0xbf7ee86f, v82
	v_mul_f32_e32 v101, 0xbf59a7d5, v56
	s_delay_alu instid0(VALU_DEP_2) | instskip(SKIP_1) | instid1(VALU_DEP_2)
	v_add_f32_e32 v93, v93, v99
	v_fmamk_f32 v99, v82, 0x3eb8f4ab, v105
	v_add_f32_e32 v93, v97, v93
	s_delay_alu instid0(VALU_DEP_2) | instskip(SKIP_3) | instid1(VALU_DEP_3)
	v_add_f32_e32 v95, v95, v99
	v_fmamk_f32 v99, v83, 0x3f06c442, v101
	v_fmac_f32_e32 v102, 0xbeb8f4ab, v84
	v_mul_f32_e32 v97, 0xbe8c1d8e, v76
	v_add_f32_e32 v95, v99, v95
	v_fmamk_f32 v99, v84, 0xbf7ee86f, v104
	s_delay_alu instid0(VALU_DEP_4) | instskip(NEXT) | instid1(VALU_DEP_4)
	v_dual_mul_f32 v106, 0x3f3d2fb0, v70 :: v_dual_add_f32 v93, v102, v93
	v_fmamk_f32 v102, v90, 0x3f763a35, v97
	v_fmac_f32_e32 v97, 0xbf763a35, v90
	s_delay_alu instid0(VALU_DEP_4) | instskip(NEXT) | instid1(VALU_DEP_4)
	v_add_f32_e32 v95, v99, v95
	v_fmamk_f32 v99, v87, 0x3f2c7751, v106
	v_add_f32_e32 v93, v100, v93
	v_fmac_f32_e32 v96, 0x3f2c7751, v89
	v_fmac_f32_e32 v106, 0xbf2c7751, v87
	s_delay_alu instid0(VALU_DEP_4) | instskip(NEXT) | instid1(VALU_DEP_3)
	v_dual_add_f32 v94, v102, v94 :: v_dual_add_f32 v95, v99, v95
	v_dual_mul_f32 v100, 0xbf7ba420, v74 :: v_dual_add_f32 v93, v96, v93
	v_mul_f32_e32 v99, 0xbe8c1d8e, v59
	v_mul_f32_e32 v102, 0x3ee437d1, v76
	v_fmac_f32_e32 v104, 0x3f7ee86f, v84
	s_delay_alu instid0(VALU_DEP_4) | instskip(SKIP_2) | instid1(VALU_DEP_3)
	v_fmamk_f32 v96, v89, 0x3e3c28d5, v100
	v_add_f32_e32 v93, v97, v93
	v_mul_f32_e32 v97, 0xbf59a7d5, v60
	v_dual_add_f32 v95, v96, v95 :: v_dual_fmamk_f32 v96, v78, 0x3f763a35, v99
	v_fmac_f32_e32 v99, 0xbf763a35, v78
	s_delay_alu instid0(VALU_DEP_3) | instskip(SKIP_1) | instid1(VALU_DEP_4)
	v_fmamk_f32 v103, v80, 0xbf06c442, v97
	v_fmac_f32_e32 v97, 0x3f06c442, v80
	v_add_f32_e32 v96, v14, v96
	s_delay_alu instid0(VALU_DEP_4) | instskip(SKIP_1) | instid1(VALU_DEP_3)
	v_dual_add_f32 v80, v14, v99 :: v_dual_mul_f32 v99, 0xbf7ba420, v64
	v_fmac_f32_e32 v100, 0xbe3c28d5, v89
	v_dual_add_f32 v96, v96, v103 :: v_dual_fmamk_f32 v103, v82, 0xbf2c7751, v107
	s_delay_alu instid0(VALU_DEP_3) | instskip(NEXT) | instid1(VALU_DEP_2)
	v_dual_add_f32 v80, v80, v97 :: v_dual_fmac_f32 v107, 0x3f2c7751, v82
	v_dual_mul_f32 v97, 0x3dbcf732, v70 :: v_dual_add_f32 v78, v96, v103
	v_fmamk_f32 v96, v83, 0x3f65296c, v108
	s_delay_alu instid0(VALU_DEP_3) | instskip(SKIP_1) | instid1(VALU_DEP_3)
	v_add_f32_e32 v80, v80, v107
	v_fmac_f32_e32 v108, 0xbf65296c, v83
	v_add_f32_e32 v78, v96, v78
	v_fmamk_f32 v96, v84, 0x3e3c28d5, v99
	s_delay_alu instid0(VALU_DEP_3) | instskip(NEXT) | instid1(VALU_DEP_2)
	v_add_f32_e32 v80, v108, v80
	v_dual_fmac_f32 v99, 0xbe3c28d5, v84 :: v_dual_add_f32 v78, v96, v78
	v_fmamk_f32 v96, v87, 0xbf7ee86f, v97
	s_delay_alu instid0(VALU_DEP_2) | instskip(SKIP_2) | instid1(VALU_DEP_4)
	v_dual_add_f32 v80, v99, v80 :: v_dual_fmac_f32 v97, 0x3f7ee86f, v87
	v_fmac_f32_e32 v105, 0xbeb8f4ab, v82
	v_fmac_f32_e32 v101, 0xbf06c442, v83
	v_dual_mul_f32 v83, 0xbf7ba420, v60 :: v_dual_add_f32 v78, v96, v78
	s_delay_alu instid0(VALU_DEP_4) | instskip(NEXT) | instid1(VALU_DEP_4)
	v_add_f32_e32 v80, v97, v80
	v_add_f32_e32 v98, v98, v105
	v_fmamk_f32 v105, v90, 0xbf65296c, v102
	s_delay_alu instid0(VALU_DEP_4) | instskip(NEXT) | instid1(VALU_DEP_3)
	v_add_f32_e32 v75, v75, v83
	v_dual_mul_f32 v83, 0xbe8c1d8e, v71 :: v_dual_add_f32 v98, v101, v98
	s_delay_alu instid0(VALU_DEP_3) | instskip(NEXT) | instid1(VALU_DEP_2)
	v_add_f32_e32 v82, v105, v95
	v_add_f32_e32 v98, v104, v98
	s_delay_alu instid0(VALU_DEP_1) | instskip(SKIP_1) | instid1(VALU_DEP_2)
	v_dual_add_f32 v95, v106, v98 :: v_dual_mul_f32 v98, 0x3dbcf732, v59
	v_mul_f32_e32 v96, 0x3f6eb680, v74
	v_add_f32_e32 v73, v73, v98
	s_delay_alu instid0(VALU_DEP_1) | instskip(NEXT) | instid1(VALU_DEP_1)
	v_dual_fmac_f32 v102, 0x3f65296c, v90 :: v_dual_add_f32 v73, v14, v73
	v_add_f32_e32 v73, v73, v75
	v_add_f32_e32 v75, v77, v83
	v_add_f32_e32 v77, v100, v95
	v_mul_f32_e32 v83, 0x3f6eb680, v56
	s_delay_alu instid0(VALU_DEP_3) | instskip(SKIP_1) | instid1(VALU_DEP_3)
	v_add_f32_e32 v73, v73, v75
	v_mul_f32_e32 v75, 0x3f6eb680, v59
	v_add_f32_e32 v81, v81, v83
	s_delay_alu instid0(VALU_DEP_2) | instskip(NEXT) | instid1(VALU_DEP_1)
	v_dual_mul_f32 v83, 0x3ee437d1, v64 :: v_dual_add_f32 v0, v0, v75
	v_add_f32_e32 v83, v85, v83
	v_mul_f32_e32 v85, 0xbf59a7d5, v70
	v_fmamk_f32 v84, v89, 0x3eb8f4ab, v96
	v_fmac_f32_e32 v96, 0xbeb8f4ab, v89
	v_add_f32_e32 v73, v81, v73
	v_mul_f32_e32 v89, 0x3f3d2fb0, v60
	s_delay_alu instid0(VALU_DEP_4) | instskip(NEXT) | instid1(VALU_DEP_3)
	v_dual_add_f32 v85, v86, v85 :: v_dual_add_f32 v78, v84, v78
	v_dual_mul_f32 v84, 0x3f3d2fb0, v59 :: v_dual_add_f32 v73, v83, v73
	v_mul_f32_e32 v83, 0x3dbcf732, v60
	v_mul_f32_e32 v81, 0xbf1a4643, v76
	;; [unrolled: 1-line block ×3, first 2 shown]
	v_add_f32_e32 v0, v14, v0
	v_add_f32_e32 v4, v4, v89
	;; [unrolled: 1-line block ×3, first 2 shown]
	v_dual_mul_f32 v59, 0x3ee437d1, v59 :: v_dual_add_f32 v80, v96, v80
	v_add_f32_e32 v73, v85, v73
	v_mul_f32_e32 v85, 0x3dbcf732, v56
	v_add_f32_e32 v0, v0, v4
	v_dual_add_f32 v4, v13, v86 :: v_dual_fmamk_f32 v87, v90, 0x3f4c4adb, v81
	v_fmac_f32_e32 v81, 0xbf4c4adb, v90
	v_dual_mul_f32 v60, 0xbf1a4643, v60 :: v_dual_add_f32 v57, v57, v59
	s_delay_alu instid0(VALU_DEP_3) | instskip(SKIP_1) | instid1(VALU_DEP_4)
	v_add_f32_e32 v0, v0, v4
	v_add_f32_e32 v4, v49, v85
	v_dual_add_f32 v80, v81, v80 :: v_dual_mul_f32 v81, 0xbf1a4643, v74
	v_mul_f32_e32 v59, 0xbf1a4643, v71
	v_dual_mul_f32 v71, 0xbf7ba420, v71 :: v_dual_add_f32 v60, v62, v60
	s_delay_alu instid0(VALU_DEP_3) | instskip(SKIP_4) | instid1(VALU_DEP_4)
	v_dual_mul_f32 v62, 0xbf7ba420, v56 :: v_dual_add_f32 v81, v88, v81
	v_add_f32_e32 v88, v14, v30
	v_dual_add_f32 v57, v14, v57 :: v_dual_mul_f32 v56, 0xbe8c1d8e, v56
	v_add_f32_e32 v11, v11, v84
	v_dual_mul_f32 v84, 0xbf7ba420, v76 :: v_dual_add_f32 v53, v53, v71
	v_add_f32_e32 v71, v88, v32
	s_delay_alu instid0(VALU_DEP_4)
	v_add_f32_e32 v57, v57, v60
	v_mul_f32_e32 v60, 0xbe8c1d8e, v64
	v_add_f32_e32 v56, v58, v56
	v_dual_mul_f32 v58, 0xbe8c1d8e, v70 :: v_dual_add_f32 v73, v81, v73
	v_dual_add_f32 v0, v4, v0 :: v_dual_add_f32 v71, v71, v34
	v_add_f32_e32 v53, v57, v53
	v_dual_add_f32 v11, v14, v11 :: v_dual_mul_f32 v88, 0xbf59a7d5, v64
	v_mul_f32_e32 v64, 0x3f3d2fb0, v64
	s_delay_alu instid0(VALU_DEP_4) | instskip(NEXT) | instid1(VALU_DEP_4)
	v_add_f32_e32 v71, v71, v36
	v_add_f32_e32 v53, v56, v53
	s_delay_alu instid0(VALU_DEP_4) | instskip(NEXT) | instid1(VALU_DEP_4)
	v_add_f32_e32 v11, v11, v12
	v_dual_add_f32 v49, v87, v78 :: v_dual_add_f32 v64, v65, v64
	s_delay_alu instid0(VALU_DEP_4) | instskip(NEXT) | instid1(VALU_DEP_1)
	v_add_f32_e32 v56, v71, v38
	v_add_f32_e32 v56, v56, v40
	s_delay_alu instid0(VALU_DEP_1) | instskip(NEXT) | instid1(VALU_DEP_1)
	v_add_f32_e32 v56, v56, v42
	v_add_f32_e32 v14, v56, v44
	s_delay_alu instid0(VALU_DEP_1) | instskip(NEXT) | instid1(VALU_DEP_1)
	v_dual_add_f32 v12, v14, v46 :: v_dual_add_f32 v13, v48, v59
	v_add_f32_e32 v12, v12, v22
	v_mul_f32_e32 v81, 0xbf1a4643, v70
	v_mul_f32_e32 v70, 0x3f6eb680, v70
	s_delay_alu instid0(VALU_DEP_3) | instskip(SKIP_2) | instid1(VALU_DEP_4)
	v_add_f32_e32 v4, v12, v24
	v_mul_f32_e32 v57, 0x3f3d2fb0, v76
	v_add_f32_e32 v12, v51, v60
	v_add_f32_e32 v14, v66, v70
	s_delay_alu instid0(VALU_DEP_3) | instskip(NEXT) | instid1(VALU_DEP_3)
	v_dual_add_f32 v4, v4, v26 :: v_dual_add_f32 v57, v79, v57
	v_add_f32_e32 v0, v12, v0
	v_dual_add_f32 v12, v54, v81 :: v_dual_mul_f32 v79, 0xbf59a7d5, v74
	s_delay_alu instid0(VALU_DEP_3) | instskip(SKIP_1) | instid1(VALU_DEP_3)
	v_dual_add_f32 v4, v4, v20 :: v_dual_mul_f32 v71, 0x3ee437d1, v74
	v_mul_f32_e32 v74, 0x3dbcf732, v74
	v_add_f32_e32 v0, v12, v0
	s_delay_alu instid0(VALU_DEP_4) | instskip(NEXT) | instid1(VALU_DEP_4)
	v_add_f32_e32 v12, v61, v79
	v_add_f32_e32 v4, v4, v28
	s_delay_alu instid0(VALU_DEP_4) | instskip(NEXT) | instid1(VALU_DEP_3)
	v_dual_add_f32 v53, v64, v53 :: v_dual_add_f32 v48, v67, v74
	v_add_f32_e32 v0, v12, v0
	s_delay_alu instid0(VALU_DEP_3) | instskip(NEXT) | instid1(VALU_DEP_3)
	v_add_f32_e32 v4, v18, v4
	v_add_f32_e32 v14, v14, v53
	;; [unrolled: 1-line block ×3, first 2 shown]
	s_delay_alu instid0(VALU_DEP_3) | instskip(NEXT) | instid1(VALU_DEP_3)
	v_add_f32_e32 v4, v16, v4
	v_dual_add_f32 v14, v48, v14 :: v_dual_mul_f32 v75, 0x3f6eb680, v76
	v_mul_f32_e32 v76, 0xbf59a7d5, v76
	s_delay_alu instid0(VALU_DEP_4) | instskip(SKIP_1) | instid1(VALU_DEP_3)
	v_add_f32_e32 v0, v12, v0
	v_mad_u32_u24 v12, 0x44, v3, 0
	v_add_f32_e32 v48, v72, v76
	s_delay_alu instid0(VALU_DEP_1) | instskip(SKIP_3) | instid1(VALU_DEP_1)
	v_add_f32_e32 v14, v48, v14
	v_add_f32_e32 v48, v102, v77
	;; [unrolled: 1-line block ×6, first 2 shown]
	s_delay_alu instid0(VALU_DEP_1) | instskip(SKIP_1) | instid1(VALU_DEP_1)
	v_add_f32_e32 v11, v13, v11
	v_add_f32_e32 v13, v55, v58
	;; [unrolled: 1-line block ×4, first 2 shown]
	s_delay_alu instid0(VALU_DEP_1) | instskip(SKIP_1) | instid1(VALU_DEP_1)
	v_add_f32_e32 v11, v13, v11
	v_add_f32_e32 v13, v69, v75
	;; [unrolled: 1-line block ×4, first 2 shown]
	ds_store_2addr_b32 v12, v4, v0 offset1:1
	ds_store_2addr_b32 v12, v11, v14 offset0:2 offset1:3
	ds_store_2addr_b32 v12, v13, v80 offset0:4 offset1:5
	;; [unrolled: 1-line block ×7, first 2 shown]
	ds_store_b32 v12, v8 offset:64
.LBB0_13:
	s_wait_alu 0xfffe
	s_or_b32 exec_lo, exec_lo, s1
	v_add_f32_e32 v87, v31, v17
	v_sub_f32_e32 v91, v30, v16
	global_wb scope:SCOPE_SE
	s_wait_dscnt 0x0
	s_barrier_signal -1
	s_barrier_wait -1
	global_inv scope:SCOPE_SE
	v_mul_f32_e32 v93, 0xbeb8f4ab, v91
	s_add_nc_u64 s[2:3], s[14:15], s[2:3]
	v_sub_f32_e32 v63, v38, v26
	v_sub_f32_e32 v76, v34, v28
	v_add_f32_e32 v74, v35, v29
	v_fmamk_f32 v0, v87, 0x3f6eb680, v93
	v_dual_mul_f32 v94, 0xbf2c7751, v91 :: v_dual_sub_f32 v81, v32, v18
	v_mul_f32_e32 v96, 0xbf7ee86f, v91
	s_delay_alu instid0(VALU_DEP_3) | instskip(NEXT) | instid1(VALU_DEP_3)
	v_dual_add_f32 v77, v33, v19 :: v_dual_add_f32 v0, v15, v0
	v_fmamk_f32 v4, v87, 0x3f3d2fb0, v94
	v_mul_f32_e32 v95, 0xbf65296c, v91
	v_mul_f32_e32 v92, 0xbf2c7751, v81
	v_fmamk_f32 v12, v87, 0x3dbcf732, v96
	v_mul_f32_e32 v88, 0xbf4c4adb, v81
	v_dual_add_f32 v4, v15, v4 :: v_dual_mul_f32 v89, 0xbe3c28d5, v81
	s_delay_alu instid0(VALU_DEP_3) | instskip(SKIP_1) | instid1(VALU_DEP_4)
	v_dual_fmamk_f32 v13, v77, 0x3f3d2fb0, v92 :: v_dual_add_f32 v12, v15, v12
	v_fmamk_f32 v11, v87, 0x3ee437d1, v95
	v_fmamk_f32 v16, v77, 0xbf1a4643, v88
	s_delay_alu instid0(VALU_DEP_3) | instskip(SKIP_1) | instid1(VALU_DEP_4)
	v_dual_mul_f32 v85, 0xbf65296c, v76 :: v_dual_add_f32 v0, v0, v13
	v_add_f32_e32 v61, v39, v27
	v_dual_add_f32 v11, v15, v11 :: v_dual_mul_f32 v90, 0xbf7ee86f, v81
	v_sub_f32_e32 v26, v44, v46
	v_dual_add_f32 v34, v41, v25 :: v_dual_mul_f32 v83, 0x3e3c28d5, v76
	s_delay_alu instid0(VALU_DEP_3) | instskip(SKIP_3) | instid1(VALU_DEP_4)
	v_dual_add_f32 v11, v11, v16 :: v_dual_fmamk_f32 v14, v77, 0x3dbcf732, v90
	v_dual_fmamk_f32 v13, v77, 0xbf7ba420, v89 :: v_dual_sub_f32 v70, v36, v20
	v_add_f32_e32 v68, v37, v21
	v_sub_f32_e32 v36, v40, v24
	v_add_f32_e32 v4, v4, v14
	s_delay_alu instid0(VALU_DEP_4) | instskip(NEXT) | instid1(VALU_DEP_3)
	v_dual_add_f32 v12, v12, v13 :: v_dual_fmamk_f32 v13, v74, 0x3ee437d1, v85
	v_dual_mul_f32 v80, 0x3f763a35, v70 :: v_dual_mul_f32 v67, 0x3f763a35, v36
	v_add_f32_e32 v32, v45, v47
	v_mul_f32_e32 v64, 0xbe3c28d5, v26
	v_fmamk_f32 v16, v74, 0xbf7ba420, v83
	v_mul_f32_e32 v79, 0x3eb8f4ab, v70
	v_mul_f32_e32 v46, 0x3f2c7751, v26
	;; [unrolled: 1-line block ×3, first 2 shown]
	s_delay_alu instid0(VALU_DEP_4)
	v_dual_mul_f32 v78, 0xbf7ee86f, v70 :: v_dual_add_f32 v11, v11, v16
	v_fmamk_f32 v16, v68, 0xbe8c1d8e, v80
	v_mul_f32_e32 v86, 0xbf4c4adb, v76
	v_fmamk_f32 v101, v32, 0x3f3d2fb0, v46
	v_dual_mul_f32 v75, 0x3f2c7751, v63 :: v_dual_add_f32 v0, v0, v13
	v_mul_f32_e32 v71, 0xbf763a35, v63
	s_delay_alu instid0(VALU_DEP_4)
	v_dual_add_f32 v11, v16, v11 :: v_dual_fmamk_f32 v14, v74, 0xbf1a4643, v86
	v_mul_f32_e32 v62, 0x3eb8f4ab, v26
	v_add_f32_e32 v28, v43, v23
	v_mul_f32_e32 v72, 0x3f06c442, v63
	v_mul_f32_e32 v66, 0xbeb8f4ab, v36
	v_add_f32_e32 v4, v4, v14
	v_fmamk_f32 v14, v68, 0xbf7ba420, v82
	v_fmamk_f32 v13, v68, 0x3dbcf732, v78
	;; [unrolled: 1-line block ×3, first 2 shown]
	v_mul_f32_e32 v44, 0xbf06c442, v26
	s_delay_alu instid0(VALU_DEP_4) | instskip(SKIP_2) | instid1(VALU_DEP_2)
	v_dual_mul_f32 v73, 0xbf65296c, v63 :: v_dual_add_f32 v4, v14, v4
	v_fmamk_f32 v14, v61, 0x3f3d2fb0, v75
	v_dual_add_f32 v0, v13, v0 :: v_dual_fmamk_f32 v13, v68, 0x3f6eb680, v79
	v_dual_fmamk_f32 v100, v32, 0xbf59a7d5, v44 :: v_dual_add_f32 v11, v14, v11
	v_mul_f32_e32 v84, 0x3f763a35, v76
	s_delay_alu instid0(VALU_DEP_1) | instskip(NEXT) | instid1(VALU_DEP_1)
	v_fmamk_f32 v18, v74, 0xbe8c1d8e, v84
	v_add_f32_e32 v12, v12, v18
	v_fmamk_f32 v18, v61, 0xbe8c1d8e, v71
	s_delay_alu instid0(VALU_DEP_2) | instskip(NEXT) | instid1(VALU_DEP_2)
	v_add_f32_e32 v12, v13, v12
	v_dual_fmamk_f32 v13, v61, 0xbf59a7d5, v72 :: v_dual_add_f32 v0, v18, v0
	s_delay_alu instid0(VALU_DEP_1) | instskip(SKIP_1) | instid1(VALU_DEP_1)
	v_add_f32_e32 v4, v13, v4
	v_fmamk_f32 v13, v61, 0x3ee437d1, v73
	v_dual_add_f32 v12, v13, v12 :: v_dual_fmamk_f32 v13, v34, 0x3f6eb680, v66
	v_dual_sub_f32 v30, v42, v22 :: v_dual_mul_f32 v69, 0xbf06c442, v36
	v_mul_f32_e32 v65, 0xbf4c4adb, v36
	s_delay_alu instid0(VALU_DEP_3) | instskip(NEXT) | instid1(VALU_DEP_3)
	v_dual_fmamk_f32 v14, v34, 0xbe8c1d8e, v67 :: v_dual_add_f32 v11, v13, v11
	v_mul_f32_e32 v38, 0xbf7ee86f, v30
	v_mul_f32_e32 v42, 0xbf06c442, v30
	;; [unrolled: 1-line block ×3, first 2 shown]
	v_fmamk_f32 v16, v34, 0xbf1a4643, v65
	v_fmamk_f32 v13, v34, 0xbf59a7d5, v69
	;; [unrolled: 1-line block ×3, first 2 shown]
	v_add_f32_e32 v4, v14, v4
	v_fmamk_f32 v14, v28, 0xbf59a7d5, v42
	v_mul_f32_e32 v60, 0x3f65296c, v30
	s_delay_alu instid0(VALU_DEP_4) | instskip(SKIP_2) | instid1(VALU_DEP_4)
	v_dual_add_f32 v12, v13, v12 :: v_dual_add_f32 v97, v18, v11
	v_fmamk_f32 v11, v28, 0xbf1a4643, v40
	v_add_f32_e32 v0, v16, v0
	v_fmamk_f32 v16, v28, 0x3ee437d1, v60
	s_delay_alu instid0(VALU_DEP_3) | instskip(NEXT) | instid1(VALU_DEP_3)
	v_add_f32_e32 v98, v11, v12
	v_add_f32_e32 v13, v14, v0
	v_lshl_add_u32 v0, v3, 2, 0
	s_delay_alu instid0(VALU_DEP_4) | instskip(SKIP_1) | instid1(VALU_DEP_3)
	v_add_f32_e32 v14, v16, v4
	v_fmamk_f32 v11, v32, 0xbf7ba420, v64
	v_add_nc_u32_e32 v24, 0x400, v0
	v_add_nc_u32_e32 v16, 0x800, v0
	;; [unrolled: 1-line block ×5, first 2 shown]
	ds_load_2addr_b32 v[48:49], v0 offset1:153
	ds_load_2addr_b32 v[58:59], v24 offset0:50 offset1:203
	ds_load_2addr_b32 v[56:57], v16 offset0:100 offset1:253
	;; [unrolled: 1-line block ×5, first 2 shown]
	ds_load_b32 v4, v0 offset:7344
	v_add_f32_e32 v12, v11, v13
	v_dual_add_f32 v11, v99, v14 :: v_dual_add_f32 v14, v100, v97
	v_add_f32_e32 v13, v101, v98
	global_wb scope:SCOPE_SE
	s_wait_dscnt 0x0
	s_barrier_signal -1
	s_barrier_wait -1
	global_inv scope:SCOPE_SE
	s_and_saveexec_b32 s1, s0
	s_cbranch_execz .LBB0_15
; %bb.14:
	v_dual_add_f32 v31, v15, v31 :: v_dual_mul_f32 v102, 0xbf1a4643, v77
	v_mul_f32_e32 v98, 0x3f3d2fb0, v87
	v_dual_mul_f32 v97, 0x3f6eb680, v87 :: v_dual_mul_f32 v114, 0x3f6eb680, v34
	s_delay_alu instid0(VALU_DEP_3) | instskip(SKIP_2) | instid1(VALU_DEP_3)
	v_add_f32_e32 v31, v31, v33
	v_dual_mul_f32 v99, 0x3ee437d1, v87 :: v_dual_mul_f32 v112, 0x3ee437d1, v61
	v_dual_mul_f32 v100, 0x3dbcf732, v87 :: v_dual_mul_f32 v101, 0x3dbcf732, v77
	v_dual_add_f32 v31, v31, v35 :: v_dual_mul_f32 v104, 0xbf1a4643, v74
	v_mul_f32_e32 v106, 0xbe8c1d8e, v74
	v_mul_f32_e32 v33, 0x3f3d2fb0, v77
	;; [unrolled: 1-line block ×3, first 2 shown]
	s_delay_alu instid0(VALU_DEP_4) | instskip(SKIP_2) | instid1(VALU_DEP_3)
	v_dual_add_f32 v31, v31, v37 :: v_dual_mul_f32 v108, 0xbe8c1d8e, v68
	v_dual_mul_f32 v35, 0x3ee437d1, v74 :: v_dual_mul_f32 v116, 0x3ee437d1, v28
	v_mul_f32_e32 v111, 0x3f3d2fb0, v61
	v_add_f32_e32 v31, v31, v39
	v_dual_mul_f32 v39, 0xbe8c1d8e, v61 :: v_dual_sub_f32 v88, v102, v88
	s_delay_alu instid0(VALU_DEP_4) | instskip(SKIP_1) | instid1(VALU_DEP_4)
	v_sub_f32_e32 v35, v35, v85
	v_sub_f32_e32 v85, v104, v86
	v_dual_add_f32 v31, v31, v41 :: v_dual_mul_f32 v118, 0xbf1a4643, v28
	v_mul_f32_e32 v107, 0xbf7ba420, v68
	v_mul_f32_e32 v37, 0x3dbcf732, v68
	v_dual_mul_f32 v110, 0xbf59a7d5, v61 :: v_dual_mul_f32 v115, 0xbf59a7d5, v34
	s_delay_alu instid0(VALU_DEP_4) | instskip(SKIP_2) | instid1(VALU_DEP_3)
	v_dual_add_f32 v31, v31, v43 :: v_dual_mul_f32 v120, 0xbf59a7d5, v32
	v_mul_f32_e32 v122, 0xbf4c4adb, v91
	v_mul_f32_e32 v41, 0xbf1a4643, v34
	v_add_f32_e32 v31, v31, v45
	s_delay_alu instid0(VALU_DEP_1) | instskip(SKIP_1) | instid1(VALU_DEP_2)
	v_add_f32_e32 v31, v31, v47
	v_mul_f32_e32 v47, 0xbf763a35, v91
	v_add_f32_e32 v23, v31, v23
	v_sub_f32_e32 v31, v97, v93
	v_dual_sub_f32 v93, v98, v94 :: v_dual_sub_f32 v94, v99, v95
	v_sub_f32_e32 v95, v100, v96
	s_delay_alu instid0(VALU_DEP_4)
	v_add_f32_e32 v23, v23, v25
	v_fma_f32 v96, 0xbf1a4643, v87, -v122
	v_mul_f32_e32 v103, 0xbf7ba420, v77
	v_add_f32_e32 v31, v15, v31
	v_fma_f32 v25, 0xbe8c1d8e, v87, -v47
	v_add_f32_e32 v23, v23, v27
	v_fmac_f32_e32 v47, 0xbe8c1d8e, v87
	v_fmac_f32_e32 v122, 0xbf1a4643, v87
	v_fma_f32 v27, 0xbf59a7d5, v87, -v123
	v_fmac_f32_e32 v123, 0xbf59a7d5, v87
	v_add_f32_e32 v21, v23, v21
	v_sub_f32_e32 v23, v33, v92
	v_add_f32_e32 v33, v15, v93
	v_add_f32_e32 v92, v15, v96
	;; [unrolled: 1-line block ×6, first 2 shown]
	v_sub_f32_e32 v31, v103, v89
	v_add_f32_e32 v25, v15, v25
	v_add_f32_e32 v19, v19, v21
	;; [unrolled: 1-line block ×5, first 2 shown]
	v_mul_f32_e32 v31, 0x3f65296c, v81
	v_add_f32_e32 v17, v17, v19
	v_dual_sub_f32 v19, v101, v90 :: v_dual_mul_f32 v90, 0x3f06c442, v81
	v_mul_f32_e32 v43, 0xbf59a7d5, v28
	v_add_f32_e32 v93, v15, v123
	v_add_f32_e32 v23, v23, v35
	s_delay_alu instid0(VALU_DEP_4)
	v_add_f32_e32 v19, v33, v19
	v_fma_f32 v33, 0xbf59a7d5, v77, -v90
	v_fmac_f32_e32 v90, 0xbf59a7d5, v77
	v_mul_f32_e32 v117, 0x3dbcf732, v28
	v_mul_f32_e32 v119, 0x3f6eb680, v32
	;; [unrolled: 1-line block ×3, first 2 shown]
	v_add_f32_e32 v25, v25, v33
	v_add_f32_e32 v47, v47, v90
	;; [unrolled: 1-line block ×3, first 2 shown]
	v_sub_f32_e32 v35, v106, v84
	v_fma_f32 v97, 0xbf7ba420, v87, -v91
	v_fmac_f32_e32 v91, 0xbf7ba420, v87
	v_add_f32_e32 v87, v15, v94
	v_mul_f32_e32 v105, 0xbf7ba420, v74
	s_delay_alu instid0(VALU_DEP_4) | instskip(NEXT) | instid1(VALU_DEP_4)
	v_dual_mul_f32 v85, 0xbeb8f4ab, v76 :: v_dual_add_f32 v94, v15, v97
	v_add_f32_e32 v15, v15, v91
	s_delay_alu instid0(VALU_DEP_4)
	v_dual_add_f32 v87, v87, v88 :: v_dual_mul_f32 v88, 0x3f763a35, v81
	v_mul_f32_e32 v81, 0x3eb8f4ab, v81
	v_fma_f32 v89, 0x3ee437d1, v77, -v31
	v_fmac_f32_e32 v31, 0x3ee437d1, v77
	v_add_f32_e32 v29, v29, v35
	v_fma_f32 v33, 0xbe8c1d8e, v77, -v88
	v_fma_f32 v90, 0x3f6eb680, v77, -v81
	v_fmac_f32_e32 v81, 0x3f6eb680, v77
	v_mul_f32_e32 v35, 0xbf7ee86f, v76
	v_dual_mul_f32 v113, 0xbe8c1d8e, v34 :: v_dual_fmac_f32 v88, 0xbe8c1d8e, v77
	v_add_f32_e32 v33, v92, v33
	s_delay_alu instid0(VALU_DEP_4) | instskip(SKIP_4) | instid1(VALU_DEP_4)
	v_add_f32_e32 v15, v15, v81
	v_mul_f32_e32 v81, 0x3f2c7751, v76
	v_dual_mul_f32 v76, 0xbf06c442, v76 :: v_dual_add_f32 v31, v93, v31
	v_add_f32_e32 v77, v94, v90
	v_sub_f32_e32 v83, v105, v83
	v_fma_f32 v84, 0x3f3d2fb0, v74, -v81
	v_fmac_f32_e32 v81, 0x3f3d2fb0, v74
	v_add_f32_e32 v21, v21, v88
	v_add_f32_e32 v27, v27, v89
	;; [unrolled: 1-line block ×4, first 2 shown]
	v_fma_f32 v84, 0x3f6eb680, v74, -v85
	v_add_f32_e32 v47, v47, v81
	v_fma_f32 v81, 0x3dbcf732, v74, -v35
	v_fmac_f32_e32 v35, 0x3dbcf732, v74
	v_fmac_f32_e32 v85, 0x3f6eb680, v74
	v_add_f32_e32 v33, v33, v84
	v_fma_f32 v84, 0xbf59a7d5, v74, -v76
	s_delay_alu instid0(VALU_DEP_4) | instskip(SKIP_2) | instid1(VALU_DEP_4)
	v_dual_fmac_f32 v76, 0xbf59a7d5, v74 :: v_dual_add_f32 v31, v31, v35
	v_sub_f32_e32 v74, v107, v82
	v_sub_f32_e32 v37, v37, v78
	v_add_f32_e32 v35, v77, v84
	v_sub_f32_e32 v77, v108, v80
	v_dual_add_f32 v15, v15, v76 :: v_dual_mul_f32 v76, 0xbf65296c, v70
	s_delay_alu instid0(VALU_DEP_4) | instskip(SKIP_1) | instid1(VALU_DEP_4)
	v_add_f32_e32 v23, v37, v23
	v_add_f32_e32 v19, v74, v19
	;; [unrolled: 1-line block ×3, first 2 shown]
	v_mul_f32_e32 v109, 0x3f6eb680, v68
	v_fma_f32 v74, 0x3ee437d1, v68, -v76
	v_mul_f32_e32 v78, 0xbf06c442, v70
	v_dual_fmac_f32 v76, 0x3ee437d1, v68 :: v_dual_add_f32 v21, v21, v85
	s_delay_alu instid0(VALU_DEP_4) | instskip(NEXT) | instid1(VALU_DEP_4)
	v_sub_f32_e32 v37, v109, v79
	v_add_f32_e32 v25, v74, v25
	s_delay_alu instid0(VALU_DEP_4) | instskip(NEXT) | instid1(VALU_DEP_4)
	v_fma_f32 v74, 0xbf59a7d5, v68, -v78
	v_dual_add_f32 v47, v76, v47 :: v_dual_fmac_f32 v78, 0xbf59a7d5, v68
	s_delay_alu instid0(VALU_DEP_4) | instskip(SKIP_1) | instid1(VALU_DEP_4)
	v_add_f32_e32 v29, v37, v29
	v_mul_f32_e32 v37, 0x3f4c4adb, v70
	v_dual_mul_f32 v70, 0x3f2c7751, v70 :: v_dual_add_f32 v33, v74, v33
	v_add_f32_e32 v27, v27, v81
	v_add_f32_e32 v21, v78, v21
	s_delay_alu instid0(VALU_DEP_4)
	v_fma_f32 v76, 0xbf1a4643, v68, -v37
	v_fmac_f32_e32 v37, 0xbf1a4643, v68
	v_fma_f32 v74, 0x3f3d2fb0, v68, -v70
	v_fmac_f32_e32 v70, 0x3f3d2fb0, v68
	v_mul_f32_e32 v68, 0xbe3c28d5, v63
	v_mul_f32_e32 v45, 0xbf7ba420, v32
	v_add_f32_e32 v31, v37, v31
	v_sub_f32_e32 v37, v39, v71
	v_sub_f32_e32 v39, v110, v72
	v_mul_f32_e32 v71, 0x3f7ee86f, v63
	v_add_f32_e32 v35, v74, v35
	v_add_f32_e32 v15, v70, v15
	;; [unrolled: 1-line block ×4, first 2 shown]
	v_sub_f32_e32 v37, v112, v73
	v_fma_f32 v39, 0xbf7ba420, v61, -v68
	v_dual_fmac_f32 v68, 0xbf7ba420, v61 :: v_dual_add_f32 v27, v76, v27
	s_delay_alu instid0(VALU_DEP_3) | instskip(NEXT) | instid1(VALU_DEP_3)
	v_dual_sub_f32 v70, v111, v75 :: v_dual_add_f32 v29, v37, v29
	v_add_f32_e32 v25, v39, v25
	v_mul_f32_e32 v37, 0xbeb8f4ab, v63
	v_fma_f32 v39, 0x3dbcf732, v61, -v71
	v_mul_f32_e32 v63, 0xbf4c4adb, v63
	v_add_f32_e32 v47, v68, v47
	v_fmac_f32_e32 v71, 0x3dbcf732, v61
	v_fma_f32 v68, 0x3f6eb680, v61, -v37
	v_add_f32_e32 v33, v39, v33
	v_fmac_f32_e32 v37, 0x3f6eb680, v61
	v_fma_f32 v39, 0xbf1a4643, v61, -v63
	v_fmac_f32_e32 v63, 0xbf1a4643, v61
	v_add_f32_e32 v21, v71, v21
	v_add_f32_e32 v27, v68, v27
	;; [unrolled: 1-line block ×4, first 2 shown]
	v_sub_f32_e32 v37, v41, v65
	v_sub_f32_e32 v39, v113, v67
	v_mul_f32_e32 v41, 0x3f7ee86f, v36
	v_add_f32_e32 v15, v63, v15
	v_mul_f32_e32 v63, 0xbf2c7751, v36
	v_add_f32_e32 v23, v37, v23
	v_add_f32_e32 v19, v39, v19
	v_sub_f32_e32 v37, v115, v69
	v_fma_f32 v39, 0x3dbcf732, v34, -v41
	v_dual_fmac_f32 v41, 0x3dbcf732, v34 :: v_dual_add_f32 v70, v70, v77
	v_sub_f32_e32 v61, v114, v66
	s_delay_alu instid0(VALU_DEP_4) | instskip(NEXT) | instid1(VALU_DEP_4)
	v_add_f32_e32 v29, v37, v29
	v_add_f32_e32 v25, v39, v25
	v_mul_f32_e32 v37, 0xbe3c28d5, v36
	v_fma_f32 v39, 0x3f3d2fb0, v34, -v63
	v_dual_mul_f32 v36, 0x3f65296c, v36 :: v_dual_add_f32 v41, v41, v47
	v_fmac_f32_e32 v63, 0x3f3d2fb0, v34
	s_delay_alu instid0(VALU_DEP_4) | instskip(NEXT) | instid1(VALU_DEP_4)
	v_fma_f32 v47, 0xbf7ba420, v34, -v37
	v_add_f32_e32 v33, v39, v33
	v_fmac_f32_e32 v37, 0xbf7ba420, v34
	v_fma_f32 v39, 0x3ee437d1, v34, -v36
	v_fmac_f32_e32 v36, 0x3ee437d1, v34
	v_sub_f32_e32 v34, v43, v42
	v_add_f32_e32 v21, v63, v21
	v_add_f32_e32 v31, v37, v31
	v_sub_f32_e32 v37, v116, v60
	v_dual_add_f32 v15, v36, v15 :: v_dual_mul_f32 v36, 0xbeb8f4ab, v30
	v_add_f32_e32 v35, v39, v35
	v_dual_add_f32 v23, v34, v23 :: v_dual_sub_f32 v34, v117, v38
	s_delay_alu instid0(VALU_DEP_4)
	v_add_f32_e32 v19, v37, v19
	v_sub_f32_e32 v37, v118, v40
	v_fma_f32 v38, 0x3f6eb680, v28, -v36
	v_mul_f32_e32 v39, 0xbe3c28d5, v30
	v_add_f32_e32 v27, v47, v27
	v_add_f32_e32 v61, v61, v70
	;; [unrolled: 1-line block ×4, first 2 shown]
	v_fma_f32 v37, 0xbf7ba420, v28, -v39
	v_mul_f32_e32 v38, 0x3f2c7751, v30
	v_fmac_f32_e32 v39, 0xbf7ba420, v28
	v_mul_f32_e32 v30, 0xbf763a35, v30
	s_delay_alu instid0(VALU_DEP_4) | instskip(NEXT) | instid1(VALU_DEP_4)
	v_dual_fmac_f32 v36, 0x3f6eb680, v28 :: v_dual_add_f32 v33, v37, v33
	v_fma_f32 v37, 0x3f3d2fb0, v28, -v38
	s_delay_alu instid0(VALU_DEP_4) | instskip(NEXT) | instid1(VALU_DEP_4)
	v_dual_fmac_f32 v38, 0x3f3d2fb0, v28 :: v_dual_add_f32 v21, v39, v21
	v_fma_f32 v39, 0xbe8c1d8e, v28, -v30
	s_delay_alu instid0(VALU_DEP_3) | instskip(NEXT) | instid1(VALU_DEP_3)
	v_dual_fmac_f32 v30, 0xbe8c1d8e, v28 :: v_dual_add_f32 v27, v37, v27
	v_dual_add_f32 v28, v38, v31 :: v_dual_sub_f32 v31, v45, v64
	v_mul_f32_e32 v37, 0xbf4c4adb, v26
	s_delay_alu instid0(VALU_DEP_3)
	v_dual_add_f32 v15, v30, v15 :: v_dual_sub_f32 v30, v119, v62
	v_dual_mul_f32 v121, 0x3f3d2fb0, v32 :: v_dual_add_f32 v34, v34, v61
	v_add_f32_e32 v35, v39, v35
	v_add_f32_e32 v23, v31, v23
	v_sub_f32_e32 v31, v120, v44
	v_add_f32_e32 v19, v30, v19
	v_fma_f32 v30, 0xbf1a4643, v32, -v37
	v_dual_mul_f32 v39, 0x3f65296c, v26 :: v_dual_add_f32 v36, v36, v41
	s_delay_alu instid0(VALU_DEP_4) | instskip(NEXT) | instid1(VALU_DEP_3)
	v_add_f32_e32 v31, v31, v34
	v_dual_mul_f32 v34, 0xbf763a35, v26 :: v_dual_add_f32 v25, v30, v25
	s_delay_alu instid0(VALU_DEP_3) | instskip(SKIP_3) | instid1(VALU_DEP_4)
	v_fma_f32 v30, 0x3ee437d1, v32, -v39
	v_fmac_f32_e32 v37, 0xbf1a4643, v32
	v_mul_f32_e32 v26, 0x3f7ee86f, v26
	v_dual_sub_f32 v38, v121, v46 :: v_dual_fmac_f32 v39, 0x3ee437d1, v32
	v_add_f32_e32 v30, v30, v33
	v_fma_f32 v33, 0xbe8c1d8e, v32, -v34
	v_add_f32_e32 v36, v37, v36
	v_fma_f32 v37, 0x3dbcf732, v32, -v26
	v_fmac_f32_e32 v26, 0x3dbcf732, v32
	v_fmac_f32_e32 v34, 0xbe8c1d8e, v32
	v_lshl_add_u32 v32, v3, 6, v0
	v_add_f32_e32 v29, v38, v29
	v_add_f32_e32 v27, v33, v27
	;; [unrolled: 1-line block ×4, first 2 shown]
	v_dual_add_f32 v21, v39, v21 :: v_dual_add_f32 v28, v34, v28
	ds_store_2addr_b32 v32, v17, v23 offset1:1
	ds_store_2addr_b32 v32, v19, v31 offset0:2 offset1:3
	ds_store_2addr_b32 v32, v29, v25 offset0:4 offset1:5
	;; [unrolled: 1-line block ×7, first 2 shown]
	ds_store_b32 v32, v12 offset:64
.LBB0_15:
	s_wait_alu 0xfffe
	s_or_b32 exec_lo, exec_lo, s1
	v_and_b32_e32 v15, 0xff, v3
	s_load_b64 s[2:3], s[2:3], 0x0
	global_wb scope:SCOPE_SE
	s_wait_dscnt 0x0
	s_wait_kmcnt 0x0
	s_barrier_signal -1
	s_barrier_wait -1
	v_mul_lo_u16 v15, 0xf1, v15
	global_inv scope:SCOPE_SE
	v_cmp_gt_u32_e64 s0, 0x44, v3
	v_lshrrev_b16 v15, 12, v15
	s_delay_alu instid0(VALU_DEP_1) | instskip(NEXT) | instid1(VALU_DEP_1)
	v_mul_lo_u16 v17, v15, 17
	v_sub_nc_u16 v17, v3, v17
	s_delay_alu instid0(VALU_DEP_1) | instskip(NEXT) | instid1(VALU_DEP_1)
	v_and_b32_e32 v25, 0xff, v17
	v_mul_u32_u24_e32 v17, 12, v25
	s_delay_alu instid0(VALU_DEP_1)
	v_lshlrev_b32_e32 v17, 3, v17
	s_clause 0x5
	global_load_b128 v[42:45], v17, s[4:5]
	global_load_b128 v[65:68], v17, s[4:5] offset:16
	global_load_b128 v[69:72], v17, s[4:5] offset:32
	;; [unrolled: 1-line block ×5, first 2 shown]
	ds_load_2addr_b32 v[27:28], v0 offset1:153
	ds_load_2addr_b32 v[23:24], v24 offset0:50 offset1:203
	v_and_b32_e32 v26, 0xffff, v15
	ds_load_2addr_b32 v[15:16], v16 offset0:100 offset1:253
	ds_load_2addr_b32 v[17:18], v18 offset0:22 offset1:175
	;; [unrolled: 1-line block ×4, first 2 shown]
	ds_load_b32 v41, v0 offset:7344
	v_add_nc_u32_e32 v34, 0xd80, v0
	v_add_nc_u32_e32 v33, 0x680, v0
	v_add_nc_u32_e32 v39, 0x1480, v0
	global_wb scope:SCOPE_SE
	s_wait_loadcnt_dscnt 0x0
	s_barrier_signal -1
	s_barrier_wait -1
	global_inv scope:SCOPE_SE
	v_dual_mul_f32 v62, v28, v43 :: v_dual_lshlrev_b32 v25, 2, v25
	v_dual_mul_f32 v32, v59, v66 :: v_dual_mul_f32 v37, v56, v68
	v_mul_u32_u24_e32 v26, 0x374, v26
	v_mul_f32_e32 v60, v23, v45
	v_mul_f32_e32 v46, v24, v66
	v_dual_mul_f32 v40, v15, v68 :: v_dual_mul_f32 v35, v16, v70
	s_delay_alu instid0(VALU_DEP_4) | instskip(SKIP_4) | instid1(VALU_DEP_3)
	v_add3_u32 v31, 0, v26, v25
	v_dual_mul_f32 v25, v49, v43 :: v_dual_mul_f32 v36, v19, v76
	v_mul_f32_e32 v43, v20, v78
	v_dual_mul_f32 v68, v52, v76 :: v_dual_mul_f32 v61, v22, v82
	v_dual_mul_f32 v63, v41, v84 :: v_dual_fmac_f32 v46, v59, v65
	v_dual_mul_f32 v76, v4, v84 :: v_dual_fmac_f32 v43, v53, v77
	v_mul_f32_e32 v26, v58, v45
	v_mul_f32_e32 v38, v57, v70
	v_dual_mul_f32 v29, v17, v72 :: v_dual_mul_f32 v30, v18, v74
	v_dual_mul_f32 v45, v54, v72 :: v_dual_mul_f32 v66, v55, v74
	;; [unrolled: 1-line block ×3, first 2 shown]
	v_dual_mul_f32 v72, v50, v80 :: v_dual_fmac_f32 v35, v57, v69
	s_delay_alu instid0(VALU_DEP_2)
	v_dual_fmac_f32 v62, v49, v42 :: v_dual_fmac_f32 v47, v50, v79
	v_fma_f32 v64, v28, v42, -v25
	v_dual_fmac_f32 v60, v58, v44 :: v_dual_fmac_f32 v63, v4, v83
	v_fma_f32 v4, v41, v83, -v76
	v_dual_mul_f32 v70, v53, v78 :: v_dual_fmac_f32 v29, v54, v71
	v_fma_f32 v58, v23, v44, -v26
	v_fma_f32 v49, v24, v65, -v32
	v_dual_fmac_f32 v40, v56, v67 :: v_dual_fmac_f32 v61, v51, v81
	v_fma_f32 v44, v15, v67, -v37
	v_fma_f32 v37, v16, v69, -v38
	;; [unrolled: 1-line block ×3, first 2 shown]
	v_dual_fmac_f32 v30, v55, v73 :: v_dual_add_f32 v15, v48, v62
	v_fma_f32 v50, v21, v79, -v72
	v_fmac_f32_e32 v36, v52, v75
	v_fma_f32 v51, v22, v81, -v74
	v_dual_add_f32 v16, v62, v63 :: v_dual_sub_f32 v17, v64, v4
	v_fma_f32 v32, v18, v73, -v66
	v_fma_f32 v38, v19, v75, -v68
	;; [unrolled: 1-line block ×3, first 2 shown]
	v_dual_add_f32 v18, v60, v61 :: v_dual_sub_f32 v19, v58, v51
	v_dual_sub_f32 v21, v49, v50 :: v_dual_add_f32 v24, v35, v36
	v_mul_f32_e32 v53, 0xbf7e222b, v17
	v_dual_add_f32 v15, v15, v60 :: v_dual_mul_f32 v42, 0xbeedf032, v17
	v_mul_f32_e32 v52, 0xbf52af12, v17
	v_dual_add_f32 v20, v46, v47 :: v_dual_sub_f32 v23, v44, v45
	v_dual_add_f32 v22, v40, v43 :: v_dual_sub_f32 v25, v37, v38
	;; [unrolled: 1-line block ×3, first 2 shown]
	v_dual_mul_f32 v54, 0xbf6f5d39, v17 :: v_dual_mul_f32 v57, 0xbf6f5d39, v19
	v_dual_mul_f32 v56, 0xbf52af12, v19 :: v_dual_mul_f32 v71, 0xbf52af12, v21
	v_dual_mul_f32 v59, 0xbe750f2a, v19 :: v_dual_mul_f32 v68, 0xbe750f2a, v21
	v_mul_f32_e32 v66, 0x3f7e222b, v19
	v_dual_mul_f32 v70, 0x3eedf032, v21 :: v_dual_add_f32 v15, v15, v46
	v_fmamk_f32 v87, v16, 0x3f62ad3f, v42
	v_fma_f32 v42, 0x3f62ad3f, v16, -v42
	v_mul_f32_e32 v55, 0xbf29c268, v17
	v_fmamk_f32 v88, v16, 0x3f116cb1, v52
	v_fma_f32 v52, 0x3f116cb1, v16, -v52
	v_fmamk_f32 v89, v16, 0x3df6dbef, v53
	v_mul_f32_e32 v65, 0x3f29c268, v19
	v_mul_f32_e32 v19, 0x3eedf032, v19
	v_fma_f32 v53, 0x3df6dbef, v16, -v53
	v_dual_mul_f32 v17, 0xbe750f2a, v17 :: v_dual_add_f32 v52, v48, v52
	v_mul_f32_e32 v72, 0xbf6f5d39, v23
	v_dual_mul_f32 v74, 0x3eedf032, v23 :: v_dual_mul_f32 v81, 0x3eedf032, v25
	v_dual_mul_f32 v76, 0x3e750f2a, v23 :: v_dual_add_f32 v15, v15, v40
	v_dual_fmamk_f32 v90, v16, 0xbeb58ec6, v54 :: v_dual_fmamk_f32 v93, v18, 0xbeb58ec6, v57
	v_fma_f32 v57, 0xbeb58ec6, v18, -v57
	v_mul_f32_e32 v73, 0x3f29c268, v23
	v_dual_fmamk_f32 v94, v18, 0xbf788fa5, v59 :: v_dual_add_f32 v53, v48, v53
	v_mul_f32_e32 v75, 0xbf7e222b, v23
	v_dual_fmamk_f32 v97, v18, 0x3f62ad3f, v19 :: v_dual_fmamk_f32 v100, v20, 0x3f62ad3f, v70
	v_fmamk_f32 v95, v18, 0xbf3f9e67, v65
	v_dual_mul_f32 v23, 0x3f52af12, v23 :: v_dual_add_f32 v42, v48, v42
	v_fmamk_f32 v91, v16, 0xbf3f9e67, v55
	v_fma_f32 v55, 0xbf3f9e67, v16, -v55
	v_mul_f32_e32 v84, 0xbf29c268, v41
	v_mul_f32_e32 v82, 0xbe750f2a, v41
	v_fma_f32 v54, 0xbeb58ec6, v16, -v54
	v_fmamk_f32 v92, v16, 0xbf788fa5, v17
	v_mul_f32_e32 v86, 0xbf6f5d39, v41
	v_fma_f32 v16, 0xbf788fa5, v16, -v17
	v_fma_f32 v59, 0xbf788fa5, v18, -v59
	v_fmamk_f32 v107, v22, 0x3f116cb1, v23
	v_dual_mul_f32 v80, 0x3e750f2a, v25 :: v_dual_add_f32 v55, v48, v55
	v_fmamk_f32 v114, v26, 0xbf3f9e67, v84
	v_mul_f32_e32 v69, 0x3f6f5d39, v21
	v_dual_mul_f32 v67, 0xbf7e222b, v21 :: v_dual_add_f32 v54, v48, v54
	v_dual_mul_f32 v21, 0xbf29c268, v21 :: v_dual_add_f32 v16, v48, v16
	v_mul_f32_e32 v77, 0xbf29c268, v25
	v_mul_f32_e32 v78, 0x3f7e222b, v25
	;; [unrolled: 1-line block ×3, first 2 shown]
	v_fma_f32 v65, 0xbf3f9e67, v18, -v65
	v_mul_f32_e32 v79, 0xbf52af12, v25
	v_mul_f32_e32 v25, 0xbf6f5d39, v25
	v_dual_fmamk_f32 v99, v20, 0xbeb58ec6, v69 :: v_dual_fmamk_f32 v116, v26, 0xbeb58ec6, v86
	v_mul_f32_e32 v85, 0x3f52af12, v41
	v_mul_f32_e32 v41, 0x3f7e222b, v41
	v_fmamk_f32 v96, v18, 0x3df6dbef, v66
	v_fma_f32 v66, 0x3df6dbef, v18, -v66
	v_fma_f32 v69, 0xbeb58ec6, v20, -v69
	v_dual_fmamk_f32 v110, v24, 0xbf788fa5, v80 :: v_dual_add_f32 v53, v59, v53
	v_fmamk_f32 v17, v18, 0x3f116cb1, v56
	v_fma_f32 v56, 0x3f116cb1, v18, -v56
	v_fma_f32 v18, 0x3f62ad3f, v18, -v19
	v_dual_fmamk_f32 v98, v20, 0xbf788fa5, v68 :: v_dual_add_f32 v15, v15, v35
	v_fma_f32 v68, 0xbf788fa5, v20, -v68
	v_fma_f32 v70, 0x3f62ad3f, v20, -v70
	v_fmamk_f32 v102, v20, 0xbf3f9e67, v21
	v_fmamk_f32 v101, v20, 0x3f116cb1, v71
	;; [unrolled: 1-line block ×3, first 2 shown]
	v_fma_f32 v67, 0x3df6dbef, v20, -v67
	v_fma_f32 v71, 0x3f116cb1, v20, -v71
	;; [unrolled: 1-line block ×3, first 2 shown]
	v_dual_fmamk_f32 v21, v22, 0xbeb58ec6, v72 :: v_dual_fmamk_f32 v112, v24, 0xbeb58ec6, v25
	v_fma_f32 v72, 0xbeb58ec6, v22, -v72
	v_dual_fmamk_f32 v104, v22, 0x3f62ad3f, v74 :: v_dual_fmamk_f32 v111, v24, 0x3f62ad3f, v81
	v_fma_f32 v74, 0x3f62ad3f, v22, -v74
	v_dual_fmamk_f32 v105, v22, 0x3df6dbef, v75 :: v_dual_fmamk_f32 v108, v24, 0x3df6dbef, v78
	v_fma_f32 v75, 0x3df6dbef, v22, -v75
	v_fmamk_f32 v106, v22, 0xbf788fa5, v76
	v_fma_f32 v76, 0xbf788fa5, v22, -v76
	v_fma_f32 v78, 0x3df6dbef, v24, -v78
	;; [unrolled: 1-line block ×5, first 2 shown]
	v_fmamk_f32 v115, v26, 0x3f116cb1, v85
	v_fma_f32 v85, 0x3f116cb1, v26, -v85
	v_fma_f32 v86, 0xbeb58ec6, v26, -v86
	v_dual_fmamk_f32 v117, v26, 0x3df6dbef, v41 :: v_dual_add_f32 v54, v65, v54
	v_fmamk_f32 v109, v24, 0x3f116cb1, v79
	v_fma_f32 v79, 0x3f116cb1, v24, -v79
	v_add_f32_e32 v16, v18, v16
	v_fmamk_f32 v103, v22, 0xbf3f9e67, v73
	v_fma_f32 v73, 0xbf3f9e67, v22, -v73
	v_fma_f32 v22, 0x3f116cb1, v22, -v23
	v_fmamk_f32 v23, v24, 0xbf3f9e67, v77
	v_fma_f32 v77, 0xbf3f9e67, v24, -v77
	v_fma_f32 v24, 0xbeb58ec6, v24, -v25
	v_fmamk_f32 v25, v26, 0xbf788fa5, v82
	v_fma_f32 v82, 0xbf788fa5, v26, -v82
	v_fmamk_f32 v113, v26, 0x3f62ad3f, v83
	v_fma_f32 v83, 0x3f62ad3f, v26, -v83
	v_fma_f32 v26, 0x3df6dbef, v26, -v41
	v_add_f32_e32 v41, v48, v87
	v_add_f32_e32 v87, v48, v88
	;; [unrolled: 1-line block ×7, first 2 shown]
	v_dual_add_f32 v41, v56, v42 :: v_dual_add_f32 v48, v57, v52
	v_add_f32_e32 v42, v93, v87
	v_add_f32_e32 v52, v94, v88
	;; [unrolled: 1-line block ×3, first 2 shown]
	s_delay_alu instid0(VALU_DEP_4)
	v_dual_add_f32 v18, v67, v41 :: v_dual_add_f32 v41, v68, v48
	v_add_f32_e32 v48, v69, v53
	v_add_f32_e32 v16, v20, v16
	;; [unrolled: 1-line block ×4, first 2 shown]
	v_dual_add_f32 v18, v72, v18 :: v_dual_add_f32 v55, v66, v55
	v_dual_add_f32 v20, v73, v41 :: v_dual_add_f32 v41, v74, v48
	v_add_f32_e32 v16, v22, v16
	s_delay_alu instid0(VALU_DEP_3)
	v_add_f32_e32 v18, v77, v18
	v_add_f32_e32 v54, v101, v57
	;; [unrolled: 1-line block ×3, first 2 shown]
	v_dual_add_f32 v19, v98, v42 :: v_dual_add_f32 v22, v79, v41
	v_add_f32_e32 v42, v99, v52
	v_dual_add_f32 v52, v100, v56 :: v_dual_add_f32 v59, v97, v91
	v_dual_add_f32 v55, v71, v55 :: v_dual_add_f32 v24, v24, v16
	;; [unrolled: 1-line block ×3, first 2 shown]
	s_delay_alu instid0(VALU_DEP_3) | instskip(SKIP_1) | instid1(VALU_DEP_3)
	v_dual_add_f32 v21, v104, v42 :: v_dual_add_f32 v42, v105, v52
	v_dual_add_f32 v52, v106, v54 :: v_dual_add_f32 v15, v15, v29
	;; [unrolled: 1-line block ×3, first 2 shown]
	s_delay_alu instid0(VALU_DEP_2) | instskip(SKIP_3) | instid1(VALU_DEP_3)
	v_dual_add_f32 v23, v110, v42 :: v_dual_add_f32 v42, v111, v52
	v_dual_add_f32 v48, v75, v53 :: v_dual_add_f32 v53, v76, v55
	;; [unrolled: 1-line block ×3, first 2 shown]
	v_add_f32_e32 v16, v84, v22
	v_dual_add_f32 v41, v80, v48 :: v_dual_add_f32 v48, v81, v53
	v_dual_add_f32 v22, v115, v23 :: v_dual_add_f32 v21, v109, v21
	;; [unrolled: 1-line block ×3, first 2 shown]
	s_delay_alu instid0(VALU_DEP_3) | instskip(NEXT) | instid1(VALU_DEP_3)
	v_dual_add_f32 v26, v86, v48 :: v_dual_add_f32 v25, v25, v17
	v_dual_add_f32 v17, v83, v20 :: v_dual_add_f32 v20, v114, v21
	s_delay_alu instid0(VALU_DEP_3) | instskip(NEXT) | instid1(VALU_DEP_4)
	v_add_f32_e32 v15, v15, v36
	v_dual_add_f32 v54, v107, v56 :: v_dual_add_f32 v19, v108, v19
	v_add_f32_e32 v23, v116, v42
	s_delay_alu instid0(VALU_DEP_2) | instskip(NEXT) | instid1(VALU_DEP_3)
	v_dual_add_f32 v15, v15, v43 :: v_dual_add_f32 v52, v112, v54
	v_add_f32_e32 v19, v113, v19
	ds_store_2addr_b32 v31, v19, v20 offset0:34 offset1:51
	ds_store_2addr_b32 v31, v22, v23 offset0:68 offset1:85
	v_add_f32_e32 v21, v15, v47
	v_add_f32_e32 v15, v85, v41
	;; [unrolled: 1-line block ×3, first 2 shown]
	s_delay_alu instid0(VALU_DEP_3) | instskip(NEXT) | instid1(VALU_DEP_1)
	v_add_f32_e32 v21, v21, v61
	v_add_f32_e32 v19, v21, v63
	ds_store_2addr_b32 v31, v41, v24 offset0:102 offset1:119
	ds_store_2addr_b32 v31, v26, v15 offset0:136 offset1:153
	ds_store_2addr_b32 v31, v16, v17 offset0:170 offset1:187
	ds_store_b32 v31, v18 offset:816
	ds_store_2addr_b32 v31, v19, v25 offset1:17
	global_wb scope:SCOPE_SE
	s_wait_dscnt 0x0
	s_barrier_signal -1
	s_barrier_wait -1
	global_inv scope:SCOPE_SE
	ds_load_2addr_b32 v[19:20], v0 offset1:221
	ds_load_2addr_b32 v[21:22], v33 offset0:26 offset1:247
	ds_load_2addr_b32 v[23:24], v34 offset0:20 offset1:241
	;; [unrolled: 1-line block ×3, first 2 shown]
	ds_load_b32 v42, v0 offset:7072
                                        ; implicit-def: $vgpr41
	s_and_saveexec_b32 s1, s0
	s_cbranch_execz .LBB0_17
; %bb.16:
	v_add_nc_u32_e32 v7, 0x200, v0
	v_add_nc_u32_e32 v8, 0x900, v0
	;; [unrolled: 1-line block ×4, first 2 shown]
	ds_load_2addr_b32 v[15:16], v7 offset0:25 offset1:246
	ds_load_2addr_b32 v[17:18], v8 offset0:19 offset1:240
	;; [unrolled: 1-line block ×4, first 2 shown]
	ds_load_b32 v41, v0 offset:7684
.LBB0_17:
	s_wait_alu 0xfffe
	s_or_b32 exec_lo, exec_lo, s1
	v_dual_add_f32 v48, v27, v64 :: v_dual_sub_f32 v53, v62, v63
	v_dual_add_f32 v54, v58, v51 :: v_dual_sub_f32 v55, v60, v61
	v_add_f32_e32 v52, v64, v4
	global_wb scope:SCOPE_SE
	s_wait_dscnt 0x0
	s_barrier_signal -1
	v_mul_f32_e32 v61, 0x3f116cb1, v54
	v_dual_add_f32 v48, v48, v58 :: v_dual_mul_f32 v57, 0x3f116cb1, v52
	v_mul_f32_e32 v59, 0xbeb58ec6, v52
	v_mul_f32_e32 v56, 0x3f62ad3f, v52
	s_barrier_wait -1
	s_delay_alu instid0(VALU_DEP_3) | instskip(SKIP_3) | instid1(VALU_DEP_4)
	v_add_f32_e32 v48, v48, v49
	v_fmamk_f32 v66, v53, 0x3f52af12, v57
	v_fmac_f32_e32 v57, 0xbf52af12, v53
	v_mul_f32_e32 v58, 0x3df6dbef, v52
	v_dual_fmamk_f32 v65, v53, 0x3eedf032, v56 :: v_dual_add_f32 v48, v48, v44
	s_delay_alu instid0(VALU_DEP_3) | instskip(NEXT) | instid1(VALU_DEP_3)
	v_dual_fmamk_f32 v68, v53, 0x3f6f5d39, v59 :: v_dual_add_f32 v57, v27, v57
	v_fmamk_f32 v67, v53, 0x3f7e222b, v58
	v_mul_f32_e32 v60, 0xbf3f9e67, v52
	s_delay_alu instid0(VALU_DEP_4) | instskip(SKIP_1) | instid1(VALU_DEP_4)
	v_add_f32_e32 v48, v48, v37
	v_dual_mul_f32 v52, 0xbf788fa5, v52 :: v_dual_mul_f32 v63, 0xbf788fa5, v54
	v_add_f32_e32 v67, v27, v67
	s_delay_alu instid0(VALU_DEP_3)
	v_dual_add_f32 v65, v27, v65 :: v_dual_add_f32 v48, v48, v28
	v_fmac_f32_e32 v59, 0xbf6f5d39, v53
	v_add_f32_e32 v44, v44, v45
	v_sub_f32_e32 v40, v40, v43
	global_inv scope:SCOPE_SE
	v_add_f32_e32 v48, v48, v32
	v_dual_mul_f32 v62, 0xbeb58ec6, v54 :: v_dual_add_f32 v59, v27, v59
	v_fmamk_f32 v69, v53, 0x3f29c268, v60
	v_add_f32_e32 v49, v49, v50
	s_delay_alu instid0(VALU_DEP_3) | instskip(SKIP_1) | instid1(VALU_DEP_4)
	v_dual_add_f32 v48, v48, v38 :: v_dual_fmamk_f32 v71, v55, 0x3f6f5d39, v62
	v_fmac_f32_e32 v62, 0xbf6f5d39, v55
	v_dual_mul_f32 v64, 0xbf3f9e67, v54 :: v_dual_add_f32 v69, v27, v69
	v_fmamk_f32 v70, v53, 0x3e750f2a, v52
	s_delay_alu instid0(VALU_DEP_4) | instskip(NEXT) | instid1(VALU_DEP_4)
	v_add_f32_e32 v48, v48, v45
	v_dual_add_f32 v57, v62, v57 :: v_dual_mul_f32 v62, 0x3df6dbef, v54
	v_fmac_f32_e32 v56, 0xbeedf032, v53
	v_mul_f32_e32 v54, 0x3f62ad3f, v54
	s_delay_alu instid0(VALU_DEP_4)
	v_add_f32_e32 v48, v48, v50
	v_fmac_f32_e32 v52, 0xbe750f2a, v53
	v_fmamk_f32 v50, v55, 0xbf7e222b, v62
	v_add_f32_e32 v68, v27, v68
	v_fmac_f32_e32 v60, 0xbf29c268, v53
	v_dual_mul_f32 v43, 0xbeb58ec6, v44 :: v_dual_add_f32 v66, v27, v66
	s_delay_alu instid0(VALU_DEP_4) | instskip(SKIP_4) | instid1(VALU_DEP_3)
	v_add_f32_e32 v50, v50, v69
	v_fmac_f32_e32 v62, 0x3f7e222b, v55
	v_dual_add_f32 v48, v48, v51 :: v_dual_add_f32 v51, v27, v70
	v_add_f32_e32 v56, v27, v56
	v_fmac_f32_e32 v58, 0xbf7e222b, v53
	v_dual_fmamk_f32 v53, v55, 0x3f52af12, v61 :: v_dual_add_f32 v4, v48, v4
	v_fmac_f32_e32 v61, 0xbf52af12, v55
	v_sub_f32_e32 v46, v46, v47
	s_delay_alu instid0(VALU_DEP_4)
	v_dual_add_f32 v58, v27, v58 :: v_dual_mul_f32 v47, 0x3df6dbef, v49
	v_add_f32_e32 v60, v27, v60
	v_dual_add_f32 v27, v27, v52 :: v_dual_add_f32 v52, v53, v65
	v_dual_add_f32 v53, v61, v56 :: v_dual_fmamk_f32 v56, v55, 0x3e750f2a, v63
	v_fmac_f32_e32 v63, 0xbe750f2a, v55
	v_fmamk_f32 v61, v55, 0xbf29c268, v64
	v_fmac_f32_e32 v64, 0x3f29c268, v55
	v_add_f32_e32 v48, v71, v66
	v_add_f32_e32 v37, v37, v38
	;; [unrolled: 1-line block ×3, first 2 shown]
	v_fmamk_f32 v63, v55, 0xbeedf032, v54
	v_dual_fmac_f32 v54, 0x3eedf032, v55 :: v_dual_add_f32 v55, v62, v60
	v_fmamk_f32 v60, v46, 0x3f7e222b, v47
	s_delay_alu instid0(VALU_DEP_3) | instskip(NEXT) | instid1(VALU_DEP_3)
	v_dual_mul_f32 v62, 0xbf788fa5, v49 :: v_dual_add_f32 v51, v63, v51
	v_add_f32_e32 v27, v54, v27
	s_delay_alu instid0(VALU_DEP_3) | instskip(NEXT) | instid1(VALU_DEP_3)
	v_dual_fmac_f32 v47, 0xbf7e222b, v46 :: v_dual_add_f32 v52, v60, v52
	v_fmamk_f32 v54, v46, 0x3e750f2a, v62
	v_mul_f32_e32 v60, 0xbeb58ec6, v49
	v_dual_fmac_f32 v62, 0xbe750f2a, v46 :: v_dual_sub_f32 v35, v35, v36
	s_delay_alu instid0(VALU_DEP_4) | instskip(NEXT) | instid1(VALU_DEP_4)
	v_add_f32_e32 v47, v47, v53
	v_dual_mul_f32 v53, 0x3f62ad3f, v49 :: v_dual_add_f32 v48, v54, v48
	s_delay_alu instid0(VALU_DEP_4) | instskip(NEXT) | instid1(VALU_DEP_4)
	v_fmamk_f32 v54, v46, 0xbf6f5d39, v60
	v_dual_add_f32 v57, v62, v57 :: v_dual_add_f32 v56, v56, v67
	s_delay_alu instid0(VALU_DEP_3) | instskip(SKIP_2) | instid1(VALU_DEP_4)
	v_fmamk_f32 v62, v46, 0xbeedf032, v53
	v_fmac_f32_e32 v53, 0x3eedf032, v46
	v_dual_add_f32 v59, v64, v59 :: v_dual_mul_f32 v36, 0xbf3f9e67, v37
	v_add_f32_e32 v54, v54, v56
	v_mul_f32_e32 v56, 0x3f116cb1, v49
	v_mul_f32_e32 v49, 0xbf3f9e67, v49
	s_delay_alu instid0(VALU_DEP_4) | instskip(SKIP_1) | instid1(VALU_DEP_4)
	v_dual_add_f32 v53, v53, v59 :: v_dual_add_f32 v32, v28, v32
	v_add_f32_e32 v61, v61, v68
	v_fmamk_f32 v45, v46, 0x3f52af12, v56
	v_fmac_f32_e32 v56, 0xbf52af12, v46
	s_delay_alu instid0(VALU_DEP_2) | instskip(SKIP_2) | instid1(VALU_DEP_1)
	v_dual_mul_f32 v28, 0xbeb58ec6, v37 :: v_dual_add_f32 v45, v45, v50
	v_fmamk_f32 v50, v46, 0x3f29c268, v49
	v_fmac_f32_e32 v49, 0xbf29c268, v46
	v_dual_add_f32 v27, v49, v27 :: v_dual_fmac_f32 v60, 0x3f6f5d39, v46
	v_add_f32_e32 v46, v56, v55
	v_fmamk_f32 v55, v40, 0x3f6f5d39, v43
	v_mul_f32_e32 v56, 0xbf3f9e67, v44
	v_fmac_f32_e32 v43, 0xbf6f5d39, v40
	s_delay_alu instid0(VALU_DEP_3) | instskip(NEXT) | instid1(VALU_DEP_2)
	v_add_f32_e32 v49, v55, v52
	v_dual_mul_f32 v52, 0x3f62ad3f, v44 :: v_dual_add_f32 v43, v43, v47
	v_dual_mul_f32 v47, 0x3df6dbef, v44 :: v_dual_add_f32 v50, v50, v51
	v_fmamk_f32 v51, v40, 0xbf29c268, v56
	s_delay_alu instid0(VALU_DEP_1) | instskip(NEXT) | instid1(VALU_DEP_1)
	v_dual_add_f32 v48, v51, v48 :: v_dual_fmamk_f32 v51, v40, 0xbeedf032, v52
	v_dual_fmac_f32 v52, 0x3eedf032, v40 :: v_dual_add_f32 v51, v51, v54
	v_mul_f32_e32 v54, 0xbf788fa5, v44
	v_mul_f32_e32 v44, 0x3f116cb1, v44
	s_delay_alu instid0(VALU_DEP_2) | instskip(SKIP_1) | instid1(VALU_DEP_2)
	v_fmamk_f32 v38, v40, 0xbe750f2a, v54
	v_fmac_f32_e32 v54, 0x3e750f2a, v40
	v_add_f32_e32 v38, v38, v45
	v_fmac_f32_e32 v56, 0x3f29c268, v40
	v_fmamk_f32 v45, v40, 0xbf52af12, v44
	s_delay_alu instid0(VALU_DEP_2) | instskip(NEXT) | instid1(VALU_DEP_2)
	v_dual_fmac_f32 v44, 0x3f52af12, v40 :: v_dual_add_f32 v55, v56, v57
	v_dual_add_f32 v45, v45, v50 :: v_dual_fmamk_f32 v56, v40, 0x3f7e222b, v47
	v_fmac_f32_e32 v47, 0xbf7e222b, v40
	s_delay_alu instid0(VALU_DEP_3) | instskip(SKIP_2) | instid1(VALU_DEP_4)
	v_add_f32_e32 v27, v44, v27
	v_add_f32_e32 v58, v60, v58
	v_fmamk_f32 v40, v35, 0x3f29c268, v36
	v_dual_fmac_f32 v36, 0xbf29c268, v35 :: v_dual_add_f32 v47, v47, v53
	v_mul_f32_e32 v53, 0x3df6dbef, v37
	v_add_f32_e32 v60, v62, v61
	s_delay_alu instid0(VALU_DEP_4) | instskip(NEXT) | instid1(VALU_DEP_4)
	v_add_f32_e32 v40, v40, v49
	v_dual_mul_f32 v49, 0x3f116cb1, v37 :: v_dual_add_f32 v36, v36, v43
	s_delay_alu instid0(VALU_DEP_4) | instskip(SKIP_1) | instid1(VALU_DEP_2)
	v_fmamk_f32 v44, v35, 0xbf7e222b, v53
	v_fmac_f32_e32 v53, 0x3f7e222b, v35
	v_dual_mul_f32 v43, 0xbf788fa5, v37 :: v_dual_add_f32 v44, v44, v48
	s_delay_alu instid0(VALU_DEP_4) | instskip(NEXT) | instid1(VALU_DEP_2)
	v_fmamk_f32 v48, v35, 0x3f52af12, v49
	v_dual_add_f32 v50, v53, v55 :: v_dual_fmamk_f32 v53, v35, 0xbe750f2a, v43
	v_dual_fmac_f32 v43, 0x3e750f2a, v35 :: v_dual_add_f32 v46, v54, v46
	s_delay_alu instid0(VALU_DEP_3) | instskip(SKIP_1) | instid1(VALU_DEP_3)
	v_dual_add_f32 v48, v48, v51 :: v_dual_mul_f32 v51, 0x3f62ad3f, v37
	v_fmac_f32_e32 v49, 0xbf52af12, v35
	v_add_f32_e32 v43, v43, v47
	v_sub_f32_e32 v47, v29, v30
	v_mul_f32_e32 v29, 0xbf788fa5, v32
	v_fmamk_f32 v37, v35, 0xbeedf032, v51
	v_dual_fmac_f32 v51, 0x3eedf032, v35 :: v_dual_add_f32 v52, v52, v58
	v_fmamk_f32 v30, v35, 0x3f6f5d39, v28
	s_delay_alu instid0(VALU_DEP_3) | instskip(NEXT) | instid1(VALU_DEP_3)
	v_dual_fmac_f32 v28, 0xbf6f5d39, v35 :: v_dual_add_f32 v37, v37, v38
	v_add_f32_e32 v38, v51, v46
	v_fmamk_f32 v35, v47, 0x3e750f2a, v29
	s_delay_alu instid0(VALU_DEP_4) | instskip(NEXT) | instid1(VALU_DEP_4)
	v_dual_add_f32 v45, v30, v45 :: v_dual_add_f32 v56, v56, v60
	v_add_f32_e32 v51, v28, v27
	v_mul_f32_e32 v27, 0xbf3f9e67, v32
	v_mul_f32_e32 v46, 0x3f62ad3f, v32
	v_add_f32_e32 v35, v35, v40
	v_add_f32_e32 v49, v49, v52
	v_fmac_f32_e32 v29, 0xbe750f2a, v47
	v_fmamk_f32 v40, v47, 0x3f29c268, v27
	v_fmamk_f32 v28, v47, 0xbeedf032, v46
	v_fmac_f32_e32 v27, 0xbf29c268, v47
	v_fmac_f32_e32 v46, 0x3eedf032, v47
	v_add_f32_e32 v52, v53, v56
	v_add_f32_e32 v40, v40, v48
	v_mul_f32_e32 v48, 0xbeb58ec6, v32
	v_add_f32_e32 v44, v28, v44
	v_add_f32_e32 v28, v27, v49
	s_delay_alu instid0(VALU_DEP_3) | instskip(SKIP_3) | instid1(VALU_DEP_3)
	v_dual_fmamk_f32 v49, v47, 0x3f6f5d39, v48 :: v_dual_add_f32 v30, v29, v36
	v_mul_f32_e32 v36, 0x3f116cb1, v32
	v_dual_mul_f32 v32, 0x3df6dbef, v32 :: v_dual_add_f32 v29, v46, v50
	v_fmac_f32_e32 v48, 0xbf6f5d39, v47
	v_fmamk_f32 v46, v47, 0xbf52af12, v36
	v_fmac_f32_e32 v36, 0x3f52af12, v47
	s_delay_alu instid0(VALU_DEP_4) | instskip(SKIP_1) | instid1(VALU_DEP_3)
	v_fmamk_f32 v50, v47, 0xbf7e222b, v32
	v_fmac_f32_e32 v32, 0x3f7e222b, v47
	v_dual_add_f32 v46, v46, v52 :: v_dual_add_f32 v27, v36, v43
	v_dual_add_f32 v36, v49, v37 :: v_dual_add_f32 v37, v48, v38
	s_delay_alu instid0(VALU_DEP_4) | instskip(NEXT) | instid1(VALU_DEP_4)
	v_add_f32_e32 v38, v50, v45
	v_add_f32_e32 v32, v32, v51
	ds_store_2addr_b32 v31, v4, v35 offset1:17
	ds_store_2addr_b32 v31, v44, v40 offset0:34 offset1:51
	ds_store_2addr_b32 v31, v46, v36 offset0:68 offset1:85
	;; [unrolled: 1-line block ×5, first 2 shown]
	ds_store_b32 v31, v30 offset:816
	global_wb scope:SCOPE_SE
	s_wait_dscnt 0x0
	s_barrier_signal -1
	s_barrier_wait -1
	global_inv scope:SCOPE_SE
	ds_load_2addr_b32 v[31:32], v0 offset1:221
	ds_load_2addr_b32 v[35:36], v33 offset0:26 offset1:247
	ds_load_2addr_b32 v[37:38], v34 offset0:20 offset1:241
	;; [unrolled: 1-line block ×3, first 2 shown]
	ds_load_b32 v44, v0 offset:7072
                                        ; implicit-def: $vgpr43
	s_and_saveexec_b32 s1, s0
	s_cbranch_execz .LBB0_19
; %bb.18:
	v_add_nc_u32_e32 v4, 0x200, v0
	v_add_nc_u32_e32 v11, 0x900, v0
	;; [unrolled: 1-line block ×4, first 2 shown]
	ds_load_2addr_b32 v[27:28], v4 offset0:25 offset1:246
	ds_load_2addr_b32 v[29:30], v11 offset0:19 offset1:240
	;; [unrolled: 1-line block ×4, first 2 shown]
	ds_load_b32 v43, v0 offset:7684
.LBB0_19:
	s_wait_alu 0xfffe
	s_or_b32 exec_lo, exec_lo, s1
	s_and_saveexec_b32 s1, vcc_lo
	s_cbranch_execz .LBB0_22
; %bb.20:
	v_dual_mov_b32 v34, 0 :: v_dual_lshlrev_b32 v33, 3, v3
	v_mul_lo_u32 v0, s3, v5
	v_mul_lo_u32 v6, s2, v6
	v_mad_co_u64_u32 v[4:5], null, s2, v5, 0
	s_delay_alu instid0(VALU_DEP_4) | instskip(NEXT) | instid1(VALU_DEP_2)
	v_lshlrev_b64_e32 v[45:46], 3, v[33:34]
	v_add3_u32 v5, v5, v6, v0
	s_delay_alu instid0(VALU_DEP_2) | instskip(SKIP_1) | instid1(VALU_DEP_3)
	v_add_co_u32 v57, vcc_lo, s4, v45
	s_wait_alu 0xfffd
	v_add_co_ci_u32_e32 v58, vcc_lo, s5, v46, vcc_lo
	s_delay_alu instid0(VALU_DEP_3)
	v_lshlrev_b64_e32 v[5:6], 3, v[4:5]
	s_clause 0x3
	global_load_b128 v[45:48], v[57:58], off offset:1632
	global_load_b128 v[49:52], v[57:58], off offset:1680
	global_load_b128 v[53:56], v[57:58], off offset:1648
	global_load_b128 v[57:60], v[57:58], off offset:1664
	v_lshlrev_b64_e32 v[0:1], 3, v[1:2]
	v_mov_b32_e32 v4, v34
	v_add_co_u32 v2, vcc_lo, s10, v5
	s_wait_alu 0xfffd
	v_add_co_ci_u32_e32 v6, vcc_lo, s11, v6, vcc_lo
	s_delay_alu instid0(VALU_DEP_2) | instskip(SKIP_1) | instid1(VALU_DEP_2)
	v_add_co_u32 v0, vcc_lo, v2, v0
	s_wait_alu 0xfffd
	v_add_co_ci_u32_e32 v1, vcc_lo, v6, v1, vcc_lo
	s_wait_loadcnt 0x3
	v_mul_f32_e32 v33, v21, v47
	v_lshlrev_b64_e32 v[4:5], 3, v[3:4]
	s_wait_loadcnt 0x1
	v_dual_mul_f32 v61, v26, v49 :: v_dual_mul_f32 v62, v23, v55
	s_wait_loadcnt 0x0
	v_mul_f32_e32 v63, v24, v57
	v_dual_mul_f32 v2, v20, v45 :: v_dual_mul_f32 v21, v21, v48
	v_add_co_u32 v0, vcc_lo, v0, v4
	s_wait_alu 0xfffd
	v_add_co_ci_u32_e32 v1, vcc_lo, v1, v5, vcc_lo
	v_mul_f32_e32 v4, v42, v51
	v_dual_mul_f32 v5, v22, v53 :: v_dual_mul_f32 v6, v25, v59
	v_dual_mul_f32 v26, v26, v50 :: v_dual_mul_f32 v23, v23, v56
	;; [unrolled: 1-line block ×3, first 2 shown]
	s_wait_dscnt 0x3
	v_dual_mul_f32 v22, v22, v54 :: v_dual_fmac_f32 v33, v35, v48
	v_dual_mul_f32 v42, v42, v52 :: v_dual_fmac_f32 v5, v36, v54
	s_wait_dscnt 0x0
	v_dual_fmac_f32 v4, v44, v52 :: v_dual_fmac_f32 v63, v38, v58
	v_dual_fmac_f32 v6, v39, v60 :: v_dual_fmac_f32 v61, v40, v50
	v_mul_f32_e32 v20, v20, v46
	v_fmac_f32_e32 v62, v37, v56
	v_fma_f32 v26, v40, v49, -v26
	v_fma_f32 v21, v35, v47, -v21
	;; [unrolled: 1-line block ×7, first 2 shown]
	v_sub_f32_e32 v37, v33, v61
	v_fma_f32 v20, v32, v45, -v20
	v_dual_sub_f32 v38, v62, v63 :: v_dual_add_f32 v39, v21, v26
	v_add_f32_e32 v40, v23, v24
	v_add_f32_e32 v42, v22, v25
	s_delay_alu instid0(VALU_DEP_4)
	v_add_f32_e32 v44, v20, v35
	v_sub_f32_e32 v20, v20, v35
	v_dual_sub_f32 v22, v22, v25 :: v_dual_sub_f32 v25, v21, v26
	v_mul_f32_e32 v21, 0x3f7c1c5c, v38
	v_dual_fmac_f32 v2, v32, v46 :: v_dual_add_f32 v35, v62, v63
	v_dual_sub_f32 v36, v5, v6 :: v_dual_fmamk_f32 v45, v39, 0x3f441b7d, v31
	v_dual_sub_f32 v26, v23, v24 :: v_dual_fmamk_f32 v53, v40, 0x3f441b7d, v31
	s_delay_alu instid0(VALU_DEP_3) | instskip(SKIP_2) | instid1(VALU_DEP_3)
	v_dual_sub_f32 v32, v2, v4 :: v_dual_add_f32 v33, v33, v61
	v_dual_add_f32 v2, v2, v4 :: v_dual_mul_f32 v57, 0x3f7c1c5c, v25
	v_dual_add_f32 v6, v5, v6 :: v_dual_fmamk_f32 v55, v35, 0x3f441b7d, v19
	v_fmamk_f32 v47, v33, 0x3f441b7d, v19
	s_delay_alu instid0(VALU_DEP_3)
	v_dual_add_f32 v49, v2, v33 :: v_dual_add_f32 v48, v44, v39
	v_fmac_f32_e32 v45, 0x3e31d0d4, v40
	v_mul_f32_e32 v46, 0x3f7c1c5c, v26
	v_mul_f32_e32 v56, 0x3f7c1c5c, v37
	v_dual_add_f32 v50, v32, v38 :: v_dual_fmac_f32 v47, 0x3e31d0d4, v35
	v_add_f32_e32 v5, v31, v42
	v_add_f32_e32 v51, v20, v26
	v_dual_add_f32 v4, v19, v6 :: v_dual_add_f32 v59, v6, v49
	v_mul_f32_e32 v52, 0xbf248dbb, v38
	v_dual_mul_f32 v54, 0xbf248dbb, v26 :: v_dual_add_f32 v49, v49, v35
	v_fma_f32 v58, 0xbf248dbb, v37, -v21
	v_add_f32_e32 v21, v42, v48
	v_fma_f32 v46, 0xbf248dbb, v25, -v46
	s_delay_alu instid0(VALU_DEP_4)
	v_dual_fmac_f32 v57, 0x3f248dbb, v20 :: v_dual_fmac_f32 v4, -0.5, v49
	v_dual_fmac_f32 v45, -0.5, v42 :: v_dual_fmac_f32 v56, 0x3f248dbb, v32
	v_dual_sub_f32 v50, v50, v37 :: v_dual_fmac_f32 v53, 0x3e31d0d4, v44
	v_dual_add_f32 v48, v48, v40 :: v_dual_fmac_f32 v55, 0x3e31d0d4, v2
	v_dual_sub_f32 v51, v51, v25 :: v_dual_fmac_f32 v52, 0x3f7c1c5c, v32
	v_dual_fmac_f32 v47, -0.5, v6 :: v_dual_fmac_f32 v54, 0x3f7c1c5c, v20
	v_dual_add_f32 v21, v23, v21 :: v_dual_fmac_f32 v58, 0x3f5db3d7, v36
	s_delay_alu instid0(VALU_DEP_4)
	v_dual_fmac_f32 v46, 0x3f5db3d7, v22 :: v_dual_fmac_f32 v5, -0.5, v48
	v_dual_add_f32 v23, v62, v59 :: v_dual_fmac_f32 v56, 0x3f5db3d7, v36
	v_fmac_f32_e32 v57, 0x3f5db3d7, v22
	v_mul_f32_e32 v59, 0x3f5db3d7, v50
	v_fmac_f32_e32 v58, 0x3eaf1d44, v32
	v_fmac_f32_e32 v45, 0xbf708fb2, v44
	;; [unrolled: 1-line block ×3, first 2 shown]
	v_dual_fmac_f32 v57, 0x3eaf1d44, v26 :: v_dual_fmac_f32 v46, 0x3eaf1d44, v20
	v_add_f32_e32 v20, v24, v21
	v_fmac_f32_e32 v54, 0xbf5db3d7, v22
	v_add_f32_e32 v22, v63, v23
	v_dual_fmac_f32 v52, 0xbf5db3d7, v36 :: v_dual_fmac_f32 v55, -0.5, v6
	s_delay_alu instid0(VALU_DEP_4) | instskip(NEXT) | instid1(VALU_DEP_3)
	v_add_f32_e32 v21, v31, v20
	v_dual_fmac_f32 v31, 0x3f441b7d, v44 :: v_dual_add_f32 v20, v19, v22
	v_fmac_f32_e32 v19, 0x3f441b7d, v2
	v_fmac_f32_e32 v54, 0x3eaf1d44, v25
	;; [unrolled: 1-line block ×3, first 2 shown]
	s_delay_alu instid0(VALU_DEP_4)
	v_fmac_f32_e32 v31, 0x3e31d0d4, v39
	v_dual_mul_f32 v48, 0x3f5db3d7, v51 :: v_dual_fmac_f32 v53, -0.5, v42
	v_fmac_f32_e32 v19, 0x3e31d0d4, v33
	v_fmac_f32_e32 v52, 0x3eaf1d44, v37
	v_sub_f32_e32 v32, v55, v54
	v_dual_fmac_f32 v4, 0xbf5db3d7, v51 :: v_dual_fmac_f32 v31, -0.5, v42
	s_delay_alu instid0(VALU_DEP_4)
	v_fmac_f32_e32 v19, -0.5, v6
	v_add_f32_e32 v23, v58, v45
	v_dual_fmac_f32 v53, 0xbf708fb2, v39 :: v_dual_sub_f32 v22, v47, v46
	v_fmac_f32_e32 v56, 0x3eaf1d44, v38
	v_fmac_f32_e32 v31, 0xbf708fb2, v40
	;; [unrolled: 1-line block ×3, first 2 shown]
	s_delay_alu instid0(VALU_DEP_4) | instskip(SKIP_2) | instid1(VALU_DEP_4)
	v_add_f32_e32 v33, v52, v53
	v_fmac_f32_e32 v5, 0x3f5db3d7, v50
	v_fma_f32 v24, 2.0, v48, v4
	v_dual_add_f32 v38, v56, v31 :: v_dual_sub_f32 v37, v19, v57
	v_fma_f32 v36, -2.0, v58, v23
	s_delay_alu instid0(VALU_DEP_4)
	v_fma_f32 v25, -2.0, v59, v5
	v_fma_f32 v35, 2.0, v46, v22
	v_fma_f32 v40, -2.0, v52, v33
	v_fma_f32 v39, 2.0, v54, v32
	;; [unrolled: 2-line block ×3, first 2 shown]
	s_clause 0x8
	global_store_b64 v[0:1], v[20:21], off
	global_store_b64 v[0:1], v[37:38], off offset:1768
	global_store_b64 v[0:1], v[32:33], off offset:3536
	;; [unrolled: 1-line block ×8, first 2 shown]
	s_and_b32 exec_lo, exec_lo, s0
	s_cbranch_execz .LBB0_22
; %bb.21:
	v_mov_b32_e32 v2, 0x99
	s_delay_alu instid0(VALU_DEP_1) | instskip(NEXT) | instid1(VALU_DEP_1)
	v_cndmask_b32_e64 v2, 0xffffffbc, v2, s0
	v_add_lshl_u32 v33, v3, v2, 3
	s_delay_alu instid0(VALU_DEP_1) | instskip(NEXT) | instid1(VALU_DEP_1)
	v_lshlrev_b64_e32 v[2:3], 3, v[33:34]
	v_add_co_u32 v31, vcc_lo, s4, v2
	s_wait_alu 0xfffd
	s_delay_alu instid0(VALU_DEP_2)
	v_add_co_ci_u32_e32 v32, vcc_lo, s5, v3, vcc_lo
	s_clause 0x3
	global_load_b128 v[2:5], v[31:32], off offset:1632
	global_load_b128 v[19:22], v[31:32], off offset:1648
	;; [unrolled: 1-line block ×4, first 2 shown]
	s_wait_loadcnt 0x3
	v_dual_mul_f32 v6, v28, v3 :: v_dual_mul_f32 v35, v29, v5
	v_mul_f32_e32 v3, v16, v3
	s_wait_loadcnt 0x2
	v_dual_mul_f32 v5, v17, v5 :: v_dual_mul_f32 v36, v30, v20
	v_dual_mul_f32 v20, v18, v20 :: v_dual_mul_f32 v37, v13, v22
	s_wait_loadcnt 0x1
	v_dual_mul_f32 v38, v14, v24 :: v_dual_mul_f32 v39, v11, v26
	v_dual_mul_f32 v26, v7, v26 :: v_dual_fmac_f32 v35, v17, v4
	v_mul_f32_e32 v22, v9, v22
	v_dual_mul_f32 v24, v10, v24 :: v_dual_fmac_f32 v37, v9, v21
	v_fmac_f32_e32 v6, v16, v2
	v_fma_f32 v2, v28, v2, -v3
	v_fma_f32 v3, v29, v4, -v5
	;; [unrolled: 1-line block ×3, first 2 shown]
	v_fmac_f32_e32 v38, v10, v23
	v_fma_f32 v10, v11, v25, -v26
	v_fmac_f32_e32 v36, v18, v19
	v_fma_f32 v9, v14, v23, -v24
	;; [unrolled: 2-line block ×3, first 2 shown]
	v_add_f32_e32 v17, v4, v10
	s_wait_loadcnt 0x0
	s_delay_alu instid0(VALU_DEP_3) | instskip(NEXT) | instid1(VALU_DEP_3)
	v_dual_mul_f32 v42, v43, v34 :: v_dual_sub_f32 v19, v36, v39
	v_sub_f32_e32 v20, v5, v9
	v_add_f32_e32 v22, v5, v9
	s_delay_alu instid0(VALU_DEP_2) | instskip(NEXT) | instid1(VALU_DEP_1)
	v_dual_fmac_f32 v42, v41, v33 :: v_dual_mul_f32 v29, 0xbf248dbb, v20
	v_dual_mul_f32 v40, v12, v32 :: v_dual_add_f32 v11, v6, v42
	s_delay_alu instid0(VALU_DEP_1) | instskip(NEXT) | instid1(VALU_DEP_1)
	v_dual_fmamk_f32 v25, v11, 0x3f441b7d, v15 :: v_dual_sub_f32 v6, v6, v42
	v_dual_mul_f32 v23, 0x3f248dbb, v6 :: v_dual_fmac_f32 v40, v8, v31
	v_add_f32_e32 v21, v37, v38
	s_delay_alu instid0(VALU_DEP_2) | instskip(SKIP_1) | instid1(VALU_DEP_2)
	v_dual_mul_f32 v34, v41, v34 :: v_dual_add_f32 v13, v35, v40
	v_sub_f32_e32 v18, v35, v40
	v_fma_f32 v7, v43, v33, -v34
	s_delay_alu instid0(VALU_DEP_3) | instskip(NEXT) | instid1(VALU_DEP_3)
	v_dual_mul_f32 v32, v8, v32 :: v_dual_fmac_f32 v25, 0x3e31d0d4, v13
	v_fmac_f32_e32 v23, 0x3f7c1c5c, v18
	s_delay_alu instid0(VALU_DEP_2) | instskip(NEXT) | instid1(VALU_DEP_4)
	v_fma_f32 v8, v12, v31, -v32
	v_add_f32_e32 v12, v2, v7
	v_sub_f32_e32 v7, v2, v7
	s_delay_alu instid0(VALU_DEP_4) | instskip(NEXT) | instid1(VALU_DEP_4)
	v_fmac_f32_e32 v23, 0x3f5db3d7, v19
	v_dual_fmamk_f32 v31, v22, 0x3f441b7d, v27 :: v_dual_add_f32 v14, v3, v8
	v_sub_f32_e32 v8, v3, v8
	v_dual_add_f32 v3, v27, v17 :: v_dual_add_f32 v16, v36, v39
	s_delay_alu instid0(VALU_DEP_3) | instskip(NEXT) | instid1(VALU_DEP_4)
	v_fmac_f32_e32 v31, 0x3e31d0d4, v12
	v_dual_add_f32 v35, v14, v12 :: v_dual_sub_f32 v4, v4, v10
	v_dual_mul_f32 v39, 0x3f7c1c5c, v20 :: v_dual_sub_f32 v10, v37, v38
	v_fmac_f32_e32 v29, 0x3f7c1c5c, v7
	s_delay_alu instid0(VALU_DEP_3) | instskip(SKIP_4) | instid1(VALU_DEP_4)
	v_dual_fmamk_f32 v26, v12, 0x3f441b7d, v27 :: v_dual_add_f32 v41, v22, v35
	v_add_f32_e32 v33, v20, v7
	v_mul_f32_e32 v24, 0x3f248dbb, v7
	v_dual_mul_f32 v28, 0xbf248dbb, v10 :: v_dual_add_f32 v35, v17, v35
	v_dual_add_f32 v32, v10, v6 :: v_dual_fmac_f32 v25, -0.5, v16
	v_sub_f32_e32 v33, v33, v8
	s_delay_alu instid0(VALU_DEP_3) | instskip(SKIP_3) | instid1(VALU_DEP_4)
	v_dual_fmac_f32 v24, 0x3f7c1c5c, v8 :: v_dual_add_f32 v5, v5, v35
	v_dual_add_f32 v34, v13, v11 :: v_dual_fmac_f32 v29, 0xbf5db3d7, v4
	v_fmac_f32_e32 v26, 0x3e31d0d4, v14
	v_dual_mul_f32 v36, 0x3f7c1c5c, v10 :: v_dual_fmac_f32 v3, -0.5, v41
	v_add_f32_e32 v5, v9, v5
	v_fmamk_f32 v30, v21, 0x3f441b7d, v15
	v_fma_f32 v39, 0xbf248dbb, v8, -v39
	v_add_f32_e32 v40, v21, v34
	v_dual_add_f32 v34, v16, v34 :: v_dual_fmac_f32 v25, 0xbf708fb2, v21
	v_add_f32_e32 v5, v27, v5
	v_fmac_f32_e32 v27, 0x3f441b7d, v14
	v_fma_f32 v36, 0xbf248dbb, v18, -v36
	v_dual_sub_f32 v32, v32, v18 :: v_dual_mul_f32 v43, 0x3f5db3d7, v33
	v_fmac_f32_e32 v39, 0x3f5db3d7, v4
	s_delay_alu instid0(VALU_DEP_4) | instskip(SKIP_1) | instid1(VALU_DEP_4)
	v_fmac_f32_e32 v27, 0x3e31d0d4, v22
	v_fmac_f32_e32 v24, 0x3f5db3d7, v4
	v_dual_fmac_f32 v36, 0x3f5db3d7, v19 :: v_dual_fmac_f32 v3, 0x3f5db3d7, v32
	v_dual_add_f32 v4, v37, v34 :: v_dual_fmac_f32 v29, 0x3eaf1d44, v8
	s_delay_alu instid0(VALU_DEP_4) | instskip(NEXT) | instid1(VALU_DEP_4)
	v_dual_fmac_f32 v27, -0.5, v17 :: v_dual_add_f32 v2, v15, v16
	v_dual_fmac_f32 v31, -0.5, v17 :: v_dual_fmac_f32 v24, 0x3eaf1d44, v20
	s_delay_alu instid0(VALU_DEP_4) | instskip(NEXT) | instid1(VALU_DEP_3)
	v_dual_fmac_f32 v39, 0x3eaf1d44, v7 :: v_dual_fmac_f32 v36, 0x3eaf1d44, v6
	v_fmac_f32_e32 v27, 0xbf708fb2, v12
	v_add_f32_e32 v4, v38, v4
	v_fmac_f32_e32 v2, -0.5, v40
	v_dual_fmac_f32 v26, -0.5, v17 :: v_dual_fmac_f32 v23, 0x3eaf1d44, v10
	s_delay_alu instid0(VALU_DEP_3) | instskip(SKIP_3) | instid1(VALU_DEP_3)
	v_dual_fmac_f32 v31, 0xbf708fb2, v14 :: v_dual_add_f32 v4, v15, v4
	v_fmac_f32_e32 v15, 0x3f441b7d, v13
	v_fmac_f32_e32 v30, 0x3e31d0d4, v11
	;; [unrolled: 1-line block ×5, first 2 shown]
	s_delay_alu instid0(VALU_DEP_4) | instskip(SKIP_3) | instid1(VALU_DEP_4)
	v_fmac_f32_e32 v30, -0.5, v16
	v_sub_f32_e32 v6, v25, v24
	v_fma_f32 v10, 2.0, v43, v2
	v_dual_fmac_f32 v15, -0.5, v16 :: v_dual_fmac_f32 v26, 0xbf708fb2, v22
	v_fmac_f32_e32 v30, 0xbf708fb2, v13
	s_delay_alu instid0(VALU_DEP_4) | instskip(NEXT) | instid1(VALU_DEP_3)
	v_fma_f32 v12, 2.0, v24, v6
	v_fmac_f32_e32 v15, 0xbf708fb2, v11
	s_delay_alu instid0(VALU_DEP_4) | instskip(NEXT) | instid1(VALU_DEP_4)
	v_dual_fmac_f32 v28, 0xbf5db3d7, v19 :: v_dual_add_f32 v7, v23, v26
	v_sub_f32_e32 v8, v30, v29
	s_delay_alu instid0(VALU_DEP_3) | instskip(NEXT) | instid1(VALU_DEP_3)
	v_sub_f32_e32 v14, v15, v39
	v_fmac_f32_e32 v28, 0x3eaf1d44, v18
	v_dual_mul_f32 v42, 0x3f5db3d7, v32 :: v_dual_add_f32 v15, v36, v27
	v_fma_f32 v13, -2.0, v23, v7
	v_fma_f32 v16, 2.0, v29, v8
	s_delay_alu instid0(VALU_DEP_4) | instskip(NEXT) | instid1(VALU_DEP_4)
	v_add_f32_e32 v9, v28, v31
	v_fma_f32 v11, -2.0, v42, v3
	v_fma_f32 v18, 2.0, v39, v14
	v_fma_f32 v19, -2.0, v36, v15
	s_delay_alu instid0(VALU_DEP_4)
	v_fma_f32 v17, -2.0, v28, v9
	s_clause 0x8
	global_store_b64 v[0:1], v[4:5], off offset:1224
	global_store_b64 v[0:1], v[6:7], off offset:2992
	;; [unrolled: 1-line block ×9, first 2 shown]
.LBB0_22:
	s_nop 0
	s_sendmsg sendmsg(MSG_DEALLOC_VGPRS)
	s_endpgm
	.section	.rodata,"a",@progbits
	.p2align	6, 0x0
	.amdhsa_kernel fft_rtc_back_len1989_factors_17_13_9_wgs_153_tpt_153_halfLds_sp_op_CI_CI_unitstride_sbrr_dirReg
		.amdhsa_group_segment_fixed_size 0
		.amdhsa_private_segment_fixed_size 0
		.amdhsa_kernarg_size 104
		.amdhsa_user_sgpr_count 2
		.amdhsa_user_sgpr_dispatch_ptr 0
		.amdhsa_user_sgpr_queue_ptr 0
		.amdhsa_user_sgpr_kernarg_segment_ptr 1
		.amdhsa_user_sgpr_dispatch_id 0
		.amdhsa_user_sgpr_private_segment_size 0
		.amdhsa_wavefront_size32 1
		.amdhsa_uses_dynamic_stack 0
		.amdhsa_enable_private_segment 0
		.amdhsa_system_sgpr_workgroup_id_x 1
		.amdhsa_system_sgpr_workgroup_id_y 0
		.amdhsa_system_sgpr_workgroup_id_z 0
		.amdhsa_system_sgpr_workgroup_info 0
		.amdhsa_system_vgpr_workitem_id 0
		.amdhsa_next_free_vgpr 124
		.amdhsa_next_free_sgpr 39
		.amdhsa_reserve_vcc 1
		.amdhsa_float_round_mode_32 0
		.amdhsa_float_round_mode_16_64 0
		.amdhsa_float_denorm_mode_32 3
		.amdhsa_float_denorm_mode_16_64 3
		.amdhsa_fp16_overflow 0
		.amdhsa_workgroup_processor_mode 1
		.amdhsa_memory_ordered 1
		.amdhsa_forward_progress 0
		.amdhsa_round_robin_scheduling 0
		.amdhsa_exception_fp_ieee_invalid_op 0
		.amdhsa_exception_fp_denorm_src 0
		.amdhsa_exception_fp_ieee_div_zero 0
		.amdhsa_exception_fp_ieee_overflow 0
		.amdhsa_exception_fp_ieee_underflow 0
		.amdhsa_exception_fp_ieee_inexact 0
		.amdhsa_exception_int_div_zero 0
	.end_amdhsa_kernel
	.text
.Lfunc_end0:
	.size	fft_rtc_back_len1989_factors_17_13_9_wgs_153_tpt_153_halfLds_sp_op_CI_CI_unitstride_sbrr_dirReg, .Lfunc_end0-fft_rtc_back_len1989_factors_17_13_9_wgs_153_tpt_153_halfLds_sp_op_CI_CI_unitstride_sbrr_dirReg
                                        ; -- End function
	.section	.AMDGPU.csdata,"",@progbits
; Kernel info:
; codeLenInByte = 13460
; NumSgprs: 41
; NumVgprs: 124
; ScratchSize: 0
; MemoryBound: 0
; FloatMode: 240
; IeeeMode: 1
; LDSByteSize: 0 bytes/workgroup (compile time only)
; SGPRBlocks: 5
; VGPRBlocks: 15
; NumSGPRsForWavesPerEU: 41
; NumVGPRsForWavesPerEU: 124
; Occupancy: 10
; WaveLimiterHint : 1
; COMPUTE_PGM_RSRC2:SCRATCH_EN: 0
; COMPUTE_PGM_RSRC2:USER_SGPR: 2
; COMPUTE_PGM_RSRC2:TRAP_HANDLER: 0
; COMPUTE_PGM_RSRC2:TGID_X_EN: 1
; COMPUTE_PGM_RSRC2:TGID_Y_EN: 0
; COMPUTE_PGM_RSRC2:TGID_Z_EN: 0
; COMPUTE_PGM_RSRC2:TIDIG_COMP_CNT: 0
	.text
	.p2alignl 7, 3214868480
	.fill 96, 4, 3214868480
	.type	__hip_cuid_14e62be91b714afe,@object ; @__hip_cuid_14e62be91b714afe
	.section	.bss,"aw",@nobits
	.globl	__hip_cuid_14e62be91b714afe
__hip_cuid_14e62be91b714afe:
	.byte	0                               ; 0x0
	.size	__hip_cuid_14e62be91b714afe, 1

	.ident	"AMD clang version 19.0.0git (https://github.com/RadeonOpenCompute/llvm-project roc-6.4.0 25133 c7fe45cf4b819c5991fe208aaa96edf142730f1d)"
	.section	".note.GNU-stack","",@progbits
	.addrsig
	.addrsig_sym __hip_cuid_14e62be91b714afe
	.amdgpu_metadata
---
amdhsa.kernels:
  - .args:
      - .actual_access:  read_only
        .address_space:  global
        .offset:         0
        .size:           8
        .value_kind:     global_buffer
      - .offset:         8
        .size:           8
        .value_kind:     by_value
      - .actual_access:  read_only
        .address_space:  global
        .offset:         16
        .size:           8
        .value_kind:     global_buffer
      - .actual_access:  read_only
        .address_space:  global
        .offset:         24
        .size:           8
        .value_kind:     global_buffer
      - .actual_access:  read_only
        .address_space:  global
        .offset:         32
        .size:           8
        .value_kind:     global_buffer
      - .offset:         40
        .size:           8
        .value_kind:     by_value
      - .actual_access:  read_only
        .address_space:  global
        .offset:         48
        .size:           8
        .value_kind:     global_buffer
      - .actual_access:  read_only
        .address_space:  global
        .offset:         56
        .size:           8
        .value_kind:     global_buffer
      - .offset:         64
        .size:           4
        .value_kind:     by_value
      - .actual_access:  read_only
        .address_space:  global
        .offset:         72
        .size:           8
        .value_kind:     global_buffer
      - .actual_access:  read_only
        .address_space:  global
        .offset:         80
        .size:           8
        .value_kind:     global_buffer
      - .actual_access:  read_only
        .address_space:  global
        .offset:         88
        .size:           8
        .value_kind:     global_buffer
      - .actual_access:  write_only
        .address_space:  global
        .offset:         96
        .size:           8
        .value_kind:     global_buffer
    .group_segment_fixed_size: 0
    .kernarg_segment_align: 8
    .kernarg_segment_size: 104
    .language:       OpenCL C
    .language_version:
      - 2
      - 0
    .max_flat_workgroup_size: 153
    .name:           fft_rtc_back_len1989_factors_17_13_9_wgs_153_tpt_153_halfLds_sp_op_CI_CI_unitstride_sbrr_dirReg
    .private_segment_fixed_size: 0
    .sgpr_count:     41
    .sgpr_spill_count: 0
    .symbol:         fft_rtc_back_len1989_factors_17_13_9_wgs_153_tpt_153_halfLds_sp_op_CI_CI_unitstride_sbrr_dirReg.kd
    .uniform_work_group_size: 1
    .uses_dynamic_stack: false
    .vgpr_count:     124
    .vgpr_spill_count: 0
    .wavefront_size: 32
    .workgroup_processor_mode: 1
amdhsa.target:   amdgcn-amd-amdhsa--gfx1201
amdhsa.version:
  - 1
  - 2
...

	.end_amdgpu_metadata
